;; amdgpu-corpus repo=ROCm/rocFFT kind=compiled arch=gfx1030 opt=O3
	.text
	.amdgcn_target "amdgcn-amd-amdhsa--gfx1030"
	.amdhsa_code_object_version 6
	.protected	bluestein_single_fwd_len1404_dim1_dp_op_CI_CI ; -- Begin function bluestein_single_fwd_len1404_dim1_dp_op_CI_CI
	.globl	bluestein_single_fwd_len1404_dim1_dp_op_CI_CI
	.p2align	8
	.type	bluestein_single_fwd_len1404_dim1_dp_op_CI_CI,@function
bluestein_single_fwd_len1404_dim1_dp_op_CI_CI: ; @bluestein_single_fwd_len1404_dim1_dp_op_CI_CI
; %bb.0:
	s_load_dwordx4 s[8:11], s[4:5], 0x28
	v_mul_u32_u24_e32 v1, 0x231, v0
	s_mov_b64 s[50:51], s[2:3]
	s_mov_b64 s[48:49], s[0:1]
	v_mov_b32_e32 v18, 0
	s_add_u32 s48, s48, s7
	v_lshrrev_b32_e32 v1, 16, v1
	s_addc_u32 s49, s49, 0
	s_mov_b32 s0, exec_lo
	v_add_nc_u32_e32 v17, s6, v1
	s_waitcnt lgkmcnt(0)
	v_cmpx_gt_u64_e64 s[8:9], v[17:18]
	s_cbranch_execz .LBB0_10
; %bb.1:
	s_clause 0x1
	s_load_dwordx4 s[0:3], s[4:5], 0x18
	s_load_dwordx4 s[12:15], s[4:5], 0x0
	v_mul_lo_u16 v1, 0x75, v1
	v_mov_b32_e32 v18, v17
                                        ; implicit-def: $vgpr188_vgpr189
	v_sub_nc_u16 v0, v0, v1
	v_and_b32_e32 v212, 0xffff, v0
	v_lshlrev_b32_e32 v255, 4, v212
	s_waitcnt lgkmcnt(0)
	s_load_dwordx4 s[16:19], s[0:1], 0x0
	s_clause 0x1
	global_load_dwordx4 v[38:41], v255, s[12:13]
	global_load_dwordx4 v[42:45], v255, s[12:13] offset:1872
	v_add_co_u32 v20, s0, s12, v255
	v_add_co_ci_u32_e64 v21, null, s13, 0, s0
	buffer_store_dword v18, off, s[48:51], 0 offset:48 ; 4-byte Folded Spill
	buffer_store_dword v19, off, s[48:51], 0 offset:52 ; 4-byte Folded Spill
	v_add_co_u32 v1, vcc_lo, 0x2800, v20
	v_add_co_ci_u32_e32 v2, vcc_lo, 0, v21, vcc_lo
	v_add_co_u32 v3, vcc_lo, 0x3000, v20
	v_add_co_ci_u32_e32 v4, vcc_lo, 0, v21, vcc_lo
	;; [unrolled: 2-line block ×3, first 2 shown]
	s_waitcnt lgkmcnt(0)
	v_mad_u64_u32 v[7:8], null, s18, v17, 0
	v_add_co_u32 v9, vcc_lo, 0x3800, v20
	v_mad_u64_u32 v[11:12], null, s16, v212, 0
	v_add_co_ci_u32_e32 v10, vcc_lo, 0, v21, vcc_lo
	v_add_co_u32 v13, vcc_lo, 0x1000, v20
	v_mad_u64_u32 v[17:18], null, s19, v17, v[8:9]
	v_add_co_ci_u32_e32 v14, vcc_lo, 0, v21, vcc_lo
	v_mad_u64_u32 v[24:25], null, s17, v212, v[12:13]
	v_add_co_u32 v15, vcc_lo, 0x4000, v20
	v_mov_b32_e32 v8, v17
	s_clause 0x2
	global_load_dwordx4 v[142:145], v[1:2], off offset:992
	global_load_dwordx4 v[138:141], v[3:4], off offset:816
	;; [unrolled: 1-line block ×3, first 2 shown]
	v_add_co_ci_u32_e32 v16, vcc_lo, 0, v21, vcc_lo
	v_mov_b32_e32 v12, v24
	v_lshlrev_b64 v[1:2], 4, v[7:8]
	v_add_co_u32 v18, vcc_lo, 0x1800, v20
	v_add_co_ci_u32_e32 v19, vcc_lo, 0, v21, vcc_lo
	v_lshlrev_b64 v[3:4], 4, v[11:12]
	v_add_co_u32 v1, vcc_lo, s10, v1
	v_add_co_ci_u32_e32 v2, vcc_lo, s11, v2, vcc_lo
	s_mul_i32 s0, s17, 0x2be0
	v_add_co_u32 v1, vcc_lo, v1, v3
	v_add_co_ci_u32_e32 v2, vcc_lo, v2, v4, vcc_lo
	s_mul_hi_u32 s1, s16, 0x2be0
	s_mul_i32 s6, s16, 0x2be0
	s_add_i32 s1, s1, s0
	v_add_co_u32 v5, vcc_lo, v1, s6
	s_mul_hi_u32 s8, s16, 0xffffdb70
	v_add_co_ci_u32_e32 v6, vcc_lo, s1, v2, vcc_lo
	s_mul_i32 s7, s17, 0xffffdb70
	s_mul_i32 s9, s16, 0xffffdb70
	s_sub_i32 s0, s8, s16
	v_add_co_u32 v11, vcc_lo, v5, s9
	s_add_i32 s0, s0, s7
	s_clause 0x1
	global_load_dwordx4 v[134:137], v[9:10], off offset:640
	global_load_dwordx4 v[122:125], v[13:14], off offset:1520
	v_add_co_ci_u32_e32 v12, vcc_lo, s0, v6, vcc_lo
	s_clause 0x1
	global_load_dwordx4 v[22:25], v[15:16], off offset:464
	global_load_dwordx4 v[126:129], v[18:19], off offset:1344
	s_clause 0x1
	global_load_dwordx4 v[1:4], v[1:2], off
	global_load_dwordx4 v[5:8], v[5:6], off
	v_add_co_u32 v28, vcc_lo, v11, s6
	v_add_co_ci_u32_e32 v29, vcc_lo, s1, v12, vcc_lo
	s_clause 0x1
	global_load_dwordx4 v[9:12], v[11:12], off
	global_load_dwordx4 v[13:16], v[28:29], off
	v_add_co_u32 v30, vcc_lo, v28, s9
	v_add_co_ci_u32_e32 v31, vcc_lo, s0, v29, vcc_lo
	v_add_co_u32 v32, vcc_lo, v30, s6
	v_add_co_ci_u32_e32 v33, vcc_lo, s1, v31, vcc_lo
	global_load_dwordx4 v[48:51], v[30:31], off
	v_add_co_u32 v17, vcc_lo, v32, s9
	v_add_co_ci_u32_e32 v18, vcc_lo, s0, v33, vcc_lo
	v_add_co_u32 v34, vcc_lo, v17, s6
	v_add_co_ci_u32_e32 v35, vcc_lo, s1, v18, vcc_lo
	;; [unrolled: 2-line block ×4, first 2 shown]
	global_load_dwordx4 v[52:55], v[32:33], off
	global_load_dwordx4 v[56:59], v[17:18], off
	;; [unrolled: 1-line block ×5, first 2 shown]
	v_add_co_u32 v17, vcc_lo, 0x4800, v20
	v_add_co_ci_u32_e32 v18, vcc_lo, 0, v21, vcc_lo
	v_add_co_u32 v32, vcc_lo, v30, s9
	v_add_co_ci_u32_e32 v33, vcc_lo, s0, v31, vcc_lo
	;; [unrolled: 2-line block ×5, first 2 shown]
	global_load_dwordx4 v[26:29], v[17:18], off offset:288
	global_load_dwordx4 v[72:75], v[32:33], off
	s_clause 0x1
	global_load_dwordx4 v[30:33], v[34:35], off offset:1168
	global_load_dwordx4 v[34:37], v[36:37], off offset:112
	global_load_dwordx4 v[76:79], v[76:77], off
	v_cmp_gt_u16_e32 vcc_lo, 0x6c, v0
	s_waitcnt vmcnt(14)
	v_mul_f64 v[17:18], v[3:4], v[40:41]
	v_mul_f64 v[80:81], v[1:2], v[40:41]
	s_waitcnt vmcnt(13)
	v_mul_f64 v[82:83], v[7:8], v[144:145]
	v_mul_f64 v[84:85], v[5:6], v[144:145]
	s_waitcnt vmcnt(12)
	v_mul_f64 v[86:87], v[11:12], v[44:45]
	s_waitcnt vmcnt(11)
	v_mul_f64 v[90:91], v[15:16], v[140:141]
	v_mul_f64 v[88:89], v[9:10], v[44:45]
	;; [unrolled: 1-line block ×3, first 2 shown]
	s_waitcnt vmcnt(10)
	v_mul_f64 v[94:95], v[50:51], v[132:133]
	v_mul_f64 v[96:97], v[48:49], v[132:133]
	v_fma_f64 v[1:2], v[1:2], v[38:39], v[17:18]
	buffer_store_dword v38, off, s[48:51], 0 offset:16 ; 4-byte Folded Spill
	buffer_store_dword v39, off, s[48:51], 0 offset:20 ; 4-byte Folded Spill
	buffer_store_dword v40, off, s[48:51], 0 offset:24 ; 4-byte Folded Spill
	buffer_store_dword v41, off, s[48:51], 0 offset:28 ; 4-byte Folded Spill
	v_fma_f64 v[5:6], v[5:6], v[142:143], v[82:83]
	buffer_store_dword v142, off, s[48:51], 0 offset:200 ; 4-byte Folded Spill
	buffer_store_dword v143, off, s[48:51], 0 offset:204 ; 4-byte Folded Spill
	buffer_store_dword v144, off, s[48:51], 0 offset:208 ; 4-byte Folded Spill
	buffer_store_dword v145, off, s[48:51], 0 offset:212 ; 4-byte Folded Spill
	;; [unrolled: 5-line block ×4, first 2 shown]
	s_waitcnt vmcnt(9)
	v_mul_f64 v[17:18], v[54:55], v[136:137]
	s_waitcnt vmcnt(8)
	v_mul_f64 v[98:99], v[58:59], v[124:125]
	s_waitcnt vmcnt(7)
	v_mul_f64 v[102:103], v[62:63], v[24:25]
	s_waitcnt vmcnt(6)
	v_mul_f64 v[106:107], v[66:67], v[128:129]
	v_mul_f64 v[100:101], v[56:57], v[124:125]
	v_mul_f64 v[104:105], v[60:61], v[24:25]
	v_fma_f64 v[48:49], v[48:49], v[130:131], v[94:95]
	buffer_store_dword v130, off, s[48:51], 0 offset:104 ; 4-byte Folded Spill
	buffer_store_dword v131, off, s[48:51], 0 offset:108 ; 4-byte Folded Spill
	;; [unrolled: 1-line block ×4, first 2 shown]
	v_mul_f64 v[108:109], v[64:65], v[128:129]
	s_waitcnt vmcnt(4)
	v_mul_f64 v[110:111], v[70:71], v[28:29]
	v_mul_f64 v[112:113], v[68:69], v[28:29]
	s_waitcnt vmcnt(2)
	v_mul_f64 v[114:115], v[74:75], v[32:33]
	v_fma_f64 v[56:57], v[56:57], v[122:123], v[98:99]
	s_waitcnt vmcnt(0)
	v_mul_f64 v[118:119], v[78:79], v[36:37]
	v_fma_f64 v[60:61], v[60:61], v[22:23], v[102:103]
	v_fma_f64 v[64:65], v[64:65], v[126:127], v[106:107]
	v_mul_f64 v[116:117], v[72:73], v[32:33]
	v_mul_f64 v[120:121], v[76:77], v[36:37]
	v_fma_f64 v[68:69], v[68:69], v[26:27], v[110:111]
	v_fma_f64 v[72:73], v[72:73], v[30:31], v[114:115]
	;; [unrolled: 1-line block ×3, first 2 shown]
	v_fma_f64 v[3:4], v[3:4], v[38:39], -v[80:81]
	v_mul_f64 v[80:81], v[52:53], v[136:137]
	v_fma_f64 v[52:53], v[52:53], v[134:135], v[17:18]
	buffer_store_dword v134, off, s[48:51], 0 offset:120 ; 4-byte Folded Spill
	buffer_store_dword v135, off, s[48:51], 0 offset:124 ; 4-byte Folded Spill
	;; [unrolled: 1-line block ×28, first 2 shown]
	v_fma_f64 v[7:8], v[7:8], v[142:143], -v[84:85]
	v_fma_f64 v[11:12], v[11:12], v[42:43], -v[88:89]
	;; [unrolled: 1-line block ×3, first 2 shown]
	s_load_dwordx4 s[8:11], s[2:3], 0x0
	v_add_co_u32 v18, s0, 0x75, v212
	v_add_co_ci_u32_e64 v21, null, 0, 0, s0
	v_fma_f64 v[50:51], v[50:51], v[130:131], -v[96:97]
	v_add_co_u32 v17, null, 0x15f, v212
	v_lshlrev_b32_e32 v25, 5, v212
	v_lshlrev_b32_e32 v29, 5, v18
	;; [unrolled: 1-line block ×3, first 2 shown]
	s_load_dwordx2 s[2:3], s[4:5], 0x38
	s_mov_b32 s5, 0xbfebb67a
	v_fma_f64 v[54:55], v[54:55], v[134:135], -v[80:81]
	v_fma_f64 v[58:59], v[58:59], v[122:123], -v[100:101]
	v_fma_f64 v[62:63], v[62:63], v[22:23], -v[104:105]
	v_fma_f64 v[66:67], v[66:67], v[126:127], -v[108:109]
	v_fma_f64 v[70:71], v[70:71], v[26:27], -v[112:113]
	v_fma_f64 v[74:75], v[74:75], v[30:31], -v[116:117]
	v_fma_f64 v[78:79], v[78:79], v[34:35], -v[120:121]
	ds_write_b128 v255, v[1:4]
	ds_write_b128 v255, v[5:8] offset:11232
	ds_write_b128 v255, v[9:12] offset:1872
	;; [unrolled: 1-line block ×11, first 2 shown]
	s_waitcnt lgkmcnt(0)
	s_waitcnt_vscnt null, 0x0
	s_barrier
	buffer_gl0_inv
	ds_read_b128 v[1:4], v255 offset:11232
	ds_read_b128 v[5:8], v255
	ds_read_b128 v[9:12], v255 offset:1872
	ds_read_b128 v[13:16], v255 offset:13104
	;; [unrolled: 1-line block ×10, first 2 shown]
	v_and_b32_e32 v23, 1, v17
	v_lshlrev_b32_e32 v26, 5, v17
	s_waitcnt lgkmcnt(0)
	s_barrier
	buffer_gl0_inv
	v_add_f64 v[80:81], v[5:6], -v[1:2]
	v_add_f64 v[82:83], v[7:8], -v[3:4]
	;; [unrolled: 1-line block ×12, first 2 shown]
	v_add_co_u32 v16, s0, 0xea, v212
	v_add_co_ci_u32_e64 v1, null, 0, 0, s0
	v_lshlrev_b32_e32 v1, 1, v212
	v_add_nc_u32_e32 v2, 0x249, v212
	v_and_b32_e32 v15, 1, v212
	v_lshlrev_b32_e32 v28, 5, v16
	s_mov_b32 s0, 0xe8584caa
	v_add_nc_u32_e32 v19, 0x3a8, v1
	v_fma_f64 v[3:4], v[5:6], 2.0, -v[80:81]
	v_fma_f64 v[5:6], v[7:8], 2.0, -v[82:83]
	;; [unrolled: 1-line block ×12, first 2 shown]
	v_and_b32_e32 v20, 1, v2
	v_lshlrev_b32_e32 v27, 5, v2
	v_lshlrev_b32_e32 v22, 4, v15
	v_lshlrev_b32_e32 v30, 4, v19
	v_lshlrev_b32_e32 v254, 4, v1
	v_lshlrev_b32_e32 v24, 4, v20
	ds_write_b128 v25, v[80:83] offset:16
	ds_write_b128 v25, v[3:6]
	ds_write_b128 v29, v[7:10]
	v_lshlrev_b32_e32 v3, 4, v23
	buffer_store_dword v29, off, s[48:51], 0 offset:252 ; 4-byte Folded Spill
	ds_write_b128 v29, v[84:87] offset:16
	ds_write_b128 v28, v[11:14]
	buffer_store_dword v28, off, s[48:51], 0 offset:248 ; 4-byte Folded Spill
	ds_write_b128 v28, v[48:51] offset:16
	ds_write_b128 v26, v[52:55]
	buffer_store_dword v26, off, s[48:51], 0 offset:240 ; 4-byte Folded Spill
	ds_write_b128 v26, v[60:63] offset:16
	ds_write_b128 v254, v[56:59] offset:14976
	buffer_store_dword v30, off, s[48:51], 0 offset:256 ; 4-byte Folded Spill
	ds_write_b128 v30, v[64:67] offset:16
	ds_write_b128 v25, v[68:71] offset:18720
	buffer_store_dword v27, off, s[48:51], 0 offset:244 ; 4-byte Folded Spill
	ds_write_b128 v27, v[76:79] offset:16
	s_waitcnt lgkmcnt(0)
	s_waitcnt_vscnt null, 0x0
	s_barrier
	buffer_gl0_inv
	s_clause 0x3
	global_load_dwordx4 v[60:63], v22, s[14:15]
	global_load_dwordx4 v[56:59], v24, s[14:15]
	;; [unrolled: 1-line block ×3, first 2 shown]
	global_load_dwordx2 v[26:27], v24, s[14:15] offset:8
	v_and_b32_e32 v22, 1, v18
	v_and_or_b32 v1, 0xfc, v1, v15
	v_and_b32_e32 v29, 3, v18
	v_and_b32_e32 v30, 3, v16
	s_mov_b32 s1, 0x3febb67a
	v_lshlrev_b32_e32 v3, 4, v22
	v_lshlrev_b32_e32 v31, 4, v1
	v_and_or_b32 v22, 0x1fc, v237, v22
	s_mov_b32 s4, s0
	global_load_dwordx2 v[24:25], v3, s[14:15]
	ds_read_b128 v[3:6], v255 offset:11232
	ds_read_b128 v[7:10], v255 offset:13104
	;; [unrolled: 1-line block ×6, first 2 shown]
	s_waitcnt vmcnt(3) lgkmcnt(4)
	v_mul_f64 v[92:93], v[9:10], v[58:59]
	v_mul_f64 v[88:89], v[5:6], v[62:63]
	s_waitcnt vmcnt(1) lgkmcnt(0)
	v_mul_f64 v[108:109], v[70:71], v[26:27]
	buffer_store_dword v26, off, s[48:51], 0 offset:232 ; 4-byte Folded Spill
	buffer_store_dword v27, off, s[48:51], 0 offset:236 ; 4-byte Folded Spill
	ds_read_b128 v[72:75], v255
	ds_read_b128 v[76:79], v255 offset:1872
	ds_read_b128 v[80:83], v255 offset:3744
	;; [unrolled: 1-line block ×3, first 2 shown]
	v_mul_f64 v[90:91], v[3:4], v[62:63]
	v_mul_f64 v[94:95], v[7:8], v[58:59]
	;; [unrolled: 1-line block ×8, first 2 shown]
	s_waitcnt vmcnt(0)
	v_fma_f64 v[92:93], v[7:8], v[24:25], -v[92:93]
	buffer_store_dword v24, off, s[48:51], 0 offset:224 ; 4-byte Folded Spill
	buffer_store_dword v25, off, s[48:51], 0 offset:228 ; 4-byte Folded Spill
	v_fma_f64 v[88:89], v[3:4], v[60:61], -v[88:89]
	v_fma_f64 v[108:109], v[68:69], v[56:57], -v[108:109]
	v_fma_f64 v[90:91], v[5:6], v[60:61], v[90:91]
	ds_read_b128 v[3:6], v255 offset:7488
	v_fma_f64 v[96:97], v[11:12], v[60:61], -v[96:97]
	v_fma_f64 v[98:99], v[13:14], v[60:61], v[98:99]
	v_fma_f64 v[100:101], v[48:49], v[64:65], -v[100:101]
	v_fma_f64 v[102:103], v[50:51], v[64:65], v[102:103]
	;; [unrolled: 2-line block ×3, first 2 shown]
	s_waitcnt lgkmcnt(3)
	v_add_f64 v[48:49], v[76:77], -v[92:93]
	v_add_f64 v[11:12], v[72:73], -v[88:89]
	v_add_f64 v[13:14], v[74:75], -v[90:91]
	s_waitcnt lgkmcnt(2)
	v_add_f64 v[52:53], v[80:81], -v[96:97]
	v_add_f64 v[54:55], v[82:83], -v[98:99]
	v_fma_f64 v[76:77], v[76:77], 2.0, -v[48:49]
	v_fma_f64 v[72:73], v[72:73], 2.0, -v[11:12]
	;; [unrolled: 1-line block ×5, first 2 shown]
	v_mul_f64 v[110:111], v[68:69], v[26:27]
	s_waitcnt lgkmcnt(1)
	v_add_f64 v[68:69], v[84:85], -v[100:101]
	v_lshlrev_b32_e32 v27, 1, v2
	v_lshlrev_b32_e32 v26, 1, v17
	v_and_or_b32 v23, 0x3fc, v26, v23
	v_lshlrev_b32_e32 v26, 4, v22
	v_fma_f64 v[94:95], v[9:10], v[24:25], v[94:95]
	ds_read_b128 v[7:10], v255 offset:9360
	v_fma_f64 v[110:111], v[70:71], v[56:57], v[110:111]
	v_add_f64 v[70:71], v[86:87], -v[102:103]
	s_waitcnt lgkmcnt(1)
	v_add_f64 v[88:89], v[3:4], -v[104:105]
	v_add_f64 v[90:91], v[5:6], -v[106:107]
	v_fma_f64 v[84:85], v[84:85], 2.0, -v[68:69]
	v_lshlrev_b32_e32 v25, 1, v16
	v_and_b32_e32 v24, 3, v212
	s_waitcnt lgkmcnt(0)
	s_waitcnt_vscnt null, 0x0
	s_barrier
	buffer_gl0_inv
	v_and_or_b32 v25, 0x3fc, v25, v15
	ds_write_b128 v31, v[11:14] offset:32
	buffer_store_dword v31, off, s[48:51], 0 offset:292 ; 4-byte Folded Spill
	v_lshlrev_b32_e32 v28, 5, v24
	v_lshlrev_b32_e32 v22, 4, v25
	v_add_f64 v[92:93], v[7:8], -v[108:109]
	v_add_f64 v[50:51], v[78:79], -v[94:95]
	;; [unrolled: 1-line block ×3, first 2 shown]
	v_fma_f64 v[86:87], v[86:87], 2.0, -v[70:71]
	v_fma_f64 v[1:2], v[3:4], 2.0, -v[88:89]
	;; [unrolled: 1-line block ×5, first 2 shown]
	ds_write_b128 v31, v[72:75]
	ds_write_b128 v26, v[76:79]
	v_fma_f64 v[7:8], v[9:10], 2.0, -v[94:95]
	v_and_or_b32 v9, 0x7fc, v19, v15
	v_and_or_b32 v10, 0x5fc, v27, v20
	v_lshlrev_b32_e32 v20, 4, v23
	buffer_store_dword v26, off, s[48:51], 0 offset:296 ; 4-byte Folded Spill
	ds_write_b128 v26, v[48:51] offset:32
	ds_write_b128 v22, v[80:83]
	v_lshlrev_b32_e32 v19, 4, v9
	v_lshlrev_b32_e32 v9, 4, v10
	buffer_store_dword v22, off, s[48:51], 0 offset:288 ; 4-byte Folded Spill
	ds_write_b128 v22, v[52:55] offset:32
	ds_write_b128 v20, v[84:87]
	buffer_store_dword v20, off, s[48:51], 0 offset:284 ; 4-byte Folded Spill
	ds_write_b128 v20, v[68:71] offset:32
	ds_write_b128 v19, v[1:4]
	;; [unrolled: 3-line block ×3, first 2 shown]
	v_and_b32_e32 v19, 3, v17
	v_lshlrev_b32_e32 v15, 5, v29
	v_lshlrev_b32_e32 v1, 5, v30
	buffer_store_dword v9, off, s[48:51], 0 offset:272 ; 4-byte Folded Spill
	ds_write_b128 v9, v[92:95] offset:32
	v_lshlrev_b32_e32 v2, 5, v19
	s_waitcnt lgkmcnt(0)
	s_waitcnt_vscnt null, 0x0
	s_barrier
	buffer_gl0_inv
	s_clause 0x7
	global_load_dwordx4 v[92:95], v28, s[14:15] offset:32
	global_load_dwordx4 v[84:87], v28, s[14:15] offset:48
	;; [unrolled: 1-line block ×8, first 2 shown]
	ds_read_b128 v[1:4], v255 offset:7488
	ds_read_b128 v[5:8], v255 offset:14976
	;; [unrolled: 1-line block ×8, first 2 shown]
	v_lshrrev_b32_e32 v15, 2, v212
	v_lshrrev_b32_e32 v20, 2, v18
	;; [unrolled: 1-line block ×4, first 2 shown]
	v_mul_u32_u24_e32 v15, 12, v15
	v_mul_u32_u24_e32 v20, 12, v20
	;; [unrolled: 1-line block ×4, first 2 shown]
	v_or_b32_e32 v15, v15, v24
	v_or_b32_e32 v20, v20, v29
	s_waitcnt vmcnt(7) lgkmcnt(7)
	v_mul_f64 v[13:14], v[3:4], v[94:95]
	s_waitcnt vmcnt(6) lgkmcnt(6)
	v_mul_f64 v[112:113], v[7:8], v[86:87]
	v_mul_f64 v[114:115], v[1:2], v[94:95]
	;; [unrolled: 1-line block ×3, first 2 shown]
	s_waitcnt vmcnt(5) lgkmcnt(5)
	v_mul_f64 v[118:119], v[11:12], v[110:111]
	v_mul_f64 v[120:121], v[9:10], v[110:111]
	s_waitcnt vmcnt(4) lgkmcnt(4)
	v_mul_f64 v[122:123], v[50:51], v[102:103]
	v_mul_f64 v[124:125], v[48:49], v[102:103]
	s_waitcnt vmcnt(3) lgkmcnt(3)
	v_mul_f64 v[126:127], v[54:55], v[98:99]
	s_waitcnt vmcnt(2) lgkmcnt(2)
	v_mul_f64 v[128:129], v[74:75], v[90:91]
	v_mul_f64 v[130:131], v[52:53], v[98:99]
	;; [unrolled: 1-line block ×3, first 2 shown]
	s_waitcnt vmcnt(1) lgkmcnt(1)
	v_mul_f64 v[134:135], v[78:79], v[82:83]
	v_mul_f64 v[136:137], v[76:77], v[82:83]
	s_waitcnt vmcnt(0) lgkmcnt(0)
	v_mul_f64 v[138:139], v[106:107], v[70:71]
	v_mul_f64 v[140:141], v[104:105], v[70:71]
	v_fma_f64 v[13:14], v[1:2], v[92:93], -v[13:14]
	v_fma_f64 v[112:113], v[5:6], v[84:85], -v[112:113]
	v_fma_f64 v[114:115], v[3:4], v[92:93], v[114:115]
	v_fma_f64 v[116:117], v[7:8], v[84:85], v[116:117]
	v_fma_f64 v[118:119], v[9:10], v[108:109], -v[118:119]
	v_fma_f64 v[120:121], v[11:12], v[108:109], v[120:121]
	v_fma_f64 v[122:123], v[48:49], v[100:101], -v[122:123]
	;; [unrolled: 2-line block ×3, first 2 shown]
	v_fma_f64 v[72:73], v[72:73], v[88:89], -v[128:129]
	v_fma_f64 v[54:55], v[54:55], v[96:97], v[130:131]
	v_fma_f64 v[74:75], v[74:75], v[88:89], v[132:133]
	v_fma_f64 v[76:77], v[76:77], v[80:81], -v[134:135]
	v_fma_f64 v[78:79], v[78:79], v[80:81], v[136:137]
	v_fma_f64 v[104:105], v[104:105], v[68:69], -v[138:139]
	v_fma_f64 v[106:107], v[106:107], v[68:69], v[140:141]
	ds_read_b128 v[1:4], v255
	ds_read_b128 v[5:8], v255 offset:1872
	ds_read_b128 v[9:12], v255 offset:3744
	;; [unrolled: 1-line block ×3, first 2 shown]
	s_waitcnt lgkmcnt(0)
	s_barrier
	buffer_gl0_inv
	v_add_f64 v[126:127], v[13:14], v[112:113]
	v_add_f64 v[128:129], v[114:115], v[116:117]
	;; [unrolled: 1-line block ×16, first 2 shown]
	v_add_f64 v[114:115], v[114:115], -v[116:117]
	v_add_f64 v[13:14], v[13:14], -v[112:113]
	v_fma_f64 v[1:2], v[126:127], -0.5, v[1:2]
	v_add_f64 v[120:121], v[120:121], -v[124:125]
	v_fma_f64 v[3:4], v[128:129], -0.5, v[3:4]
	v_add_f64 v[118:119], v[118:119], -v[122:123]
	v_fma_f64 v[5:6], v[130:131], -0.5, v[5:6]
	v_add_f64 v[54:55], v[54:55], -v[74:75]
	v_fma_f64 v[7:8], v[132:133], -0.5, v[7:8]
	v_add_f64 v[52:53], v[52:53], -v[72:73]
	v_fma_f64 v[9:10], v[134:135], -0.5, v[9:10]
	v_add_f64 v[78:79], v[78:79], -v[106:107]
	v_fma_f64 v[11:12], v[136:137], -0.5, v[11:12]
	v_add_f64 v[76:77], v[76:77], -v[104:105]
	v_fma_f64 v[48:49], v[142:143], -0.5, v[48:49]
	v_fma_f64 v[50:51], v[144:145], -0.5, v[50:51]
	v_add_f64 v[146:147], v[140:141], v[116:117]
	v_add_f64 v[144:145], v[138:139], v[112:113]
	;; [unrolled: 1-line block ×8, first 2 shown]
	v_fma_f64 v[152:153], v[114:115], s[0:1], v[1:2]
	v_fma_f64 v[164:165], v[114:115], s[4:5], v[1:2]
	;; [unrolled: 1-line block ×16, first 2 shown]
	v_or_b32_e32 v1, v22, v30
	v_or_b32_e32 v2, v23, v19
	v_lshlrev_b32_e32 v4, 4, v15
	v_lshlrev_b32_e32 v3, 4, v20
	ds_write_b128 v4, v[144:147]
	ds_write_b128 v4, v[152:155] offset:64
	v_lshlrev_b32_e32 v1, 4, v1
	v_lshlrev_b32_e32 v0, 4, v2
	buffer_store_dword v4, off, s[48:51], 0 offset:276 ; 4-byte Folded Spill
	ds_write_b128 v4, v[164:167] offset:128
	ds_write_b128 v3, v[140:143]
	ds_write_b128 v3, v[160:163] offset:64
	buffer_store_dword v3, off, s[48:51], 0 offset:268 ; 4-byte Folded Spill
	ds_write_b128 v3, v[156:159] offset:128
	ds_write_b128 v1, v[148:151]
	ds_write_b128 v1, v[168:171] offset:64
	;; [unrolled: 4-line block ×3, first 2 shown]
	buffer_store_dword v0, off, s[48:51], 0 offset:260 ; 4-byte Folded Spill
	ds_write_b128 v0, v[184:187] offset:128
	s_waitcnt lgkmcnt(0)
	s_waitcnt_vscnt null, 0x0
	s_barrier
	buffer_gl0_inv
	s_and_saveexec_b32 s0, vcc_lo
	s_cbranch_execz .LBB0_3
; %bb.2:
	ds_read_b128 v[144:147], v255
	ds_read_b128 v[152:155], v255 offset:1728
	ds_read_b128 v[164:167], v255 offset:3456
	;; [unrolled: 1-line block ×12, first 2 shown]
.LBB0_3:
	s_or_b32 exec_lo, exec_lo, s0
	v_and_b32_e32 v0, 0xff, v212
	s_mov_b32 s0, 0x4267c47c
	s_mov_b32 s1, 0xbfddbe06
	;; [unrolled: 1-line block ×4, first 2 shown]
	v_mul_lo_u16 v0, 0xab, v0
	s_mov_b32 s5, 0x3fec55a7
	s_mov_b32 s7, 0xbfea55e2
	;; [unrolled: 1-line block ×4, first 2 shown]
	v_lshrrev_b16 v0, 11, v0
	s_mov_b32 s20, 0x66966769
	s_mov_b32 s21, 0xbfefc445
	;; [unrolled: 1-line block ×4, first 2 shown]
	buffer_store_dword v0, off, s[48:51], 0 offset:216 ; 4-byte Folded Spill
	v_mul_lo_u16 v0, v0, 12
	s_mov_b32 s28, 0x2ef20147
	s_mov_b32 s29, 0xbfedeba7
	;; [unrolled: 1-line block ×4, first 2 shown]
	v_sub_nc_u16 v0, v212, v0
	s_mov_b32 s26, 0x24c2f84
	s_mov_b32 s27, 0xbfe5384d
	s_mov_b32 s24, 0xd0032e0c
	s_mov_b32 s25, 0xbfe7f3cc
	v_and_b32_e32 v0, 0xff, v0
	s_mov_b32 s34, 0x4bc48dbf
	s_mov_b32 s35, 0xbfcea1e5
	;; [unrolled: 1-line block ×4, first 2 shown]
	buffer_store_dword v0, off, s[48:51], 0 offset:220 ; 4-byte Folded Spill
	v_mad_u64_u32 v[0:1], null, 0xc0, v0, s[14:15]
	s_clause 0xb
	global_load_dwordx4 v[22:25], v[0:1], off offset:160
	global_load_dwordx4 v[250:253], v[0:1], off offset:336
	;; [unrolled: 1-line block ×12, first 2 shown]
	s_waitcnt vmcnt(11) lgkmcnt(11)
	v_mul_f64 v[0:1], v[152:153], v[24:25]
	v_mul_f64 v[4:5], v[154:155], v[24:25]
	s_waitcnt vmcnt(10) lgkmcnt(0)
	v_mul_f64 v[6:7], v[190:191], v[252:253]
	s_waitcnt vmcnt(9)
	v_mul_f64 v[8:9], v[166:167], v[134:135]
	v_mul_f64 v[2:3], v[188:189], v[252:253]
	;; [unrolled: 1-line block ×3, first 2 shown]
	s_waitcnt vmcnt(8)
	v_mul_f64 v[12:13], v[184:185], v[138:139]
	v_mul_f64 v[14:15], v[186:187], v[138:139]
	s_waitcnt vmcnt(6)
	v_mul_f64 v[194:195], v[180:181], v[74:75]
	v_mul_f64 v[192:193], v[140:141], v[130:131]
	v_fma_f64 v[210:211], v[154:155], v[22:23], v[0:1]
	buffer_store_dword v22, off, s[48:51], 0 offset:300 ; 4-byte Folded Spill
	buffer_store_dword v23, off, s[48:51], 0 offset:304 ; 4-byte Folded Spill
	;; [unrolled: 1-line block ×4, first 2 shown]
	v_fma_f64 v[26:27], v[188:189], v[250:251], -v[6:7]
	s_waitcnt vmcnt(5)
	v_mul_f64 v[6:7], v[162:163], v[30:31]
	v_mul_f64 v[188:189], v[160:161], v[30:31]
	v_fma_f64 v[202:203], v[164:165], v[132:133], -v[8:9]
	s_waitcnt vmcnt(4)
	v_mul_f64 v[8:9], v[178:179], v[34:35]
	v_fma_f64 v[204:205], v[166:167], v[132:133], v[10:11]
	v_mul_f64 v[10:11], v[176:177], v[34:35]
	v_fma_f64 v[19:20], v[190:191], v[250:251], v[2:3]
	v_fma_f64 v[186:187], v[186:187], v[136:137], v[12:13]
	v_fma_f64 v[38:39], v[184:185], v[136:137], -v[14:15]
	s_waitcnt vmcnt(3)
	v_mul_f64 v[12:13], v[158:159], v[114:115]
	s_waitcnt vmcnt(1)
	v_mul_f64 v[166:167], v[150:151], v[118:119]
	v_mul_f64 v[14:15], v[156:157], v[114:115]
	;; [unrolled: 1-line block ×3, first 2 shown]
	v_fma_f64 v[219:220], v[142:143], v[128:129], v[192:193]
	v_mul_f64 v[142:143], v[172:173], v[122:123]
	v_fma_f64 v[217:218], v[160:161], v[28:29], -v[6:7]
	buffer_store_dword v28, off, s[48:51], 0 offset:316 ; 4-byte Folded Spill
	buffer_store_dword v29, off, s[48:51], 0 offset:320 ; 4-byte Folded Spill
	;; [unrolled: 1-line block ×4, first 2 shown]
	v_fma_f64 v[196:197], v[176:177], v[32:33], -v[8:9]
	buffer_store_dword v32, off, s[48:51], 0 offset:332 ; 4-byte Folded Spill
	buffer_store_dword v33, off, s[48:51], 0 offset:336 ; 4-byte Folded Spill
	;; [unrolled: 1-line block ×4, first 2 shown]
	s_waitcnt vmcnt(0)
	v_mul_f64 v[8:9], v[170:171], v[126:127]
	v_add_f64 v[2:3], v[210:211], -v[19:20]
	v_add_f64 v[160:161], v[204:205], -v[186:187]
	v_add_f64 v[192:193], v[204:205], v[186:187]
	v_fma_f64 v[225:226], v[156:157], v[112:113], -v[12:13]
	v_fma_f64 v[227:228], v[148:149], v[116:117], -v[166:167]
	v_fma_f64 v[231:232], v[158:159], v[112:113], v[14:15]
	v_fma_f64 v[215:216], v[140:141], v[128:129], -v[190:191]
	v_mul_f64 v[140:141], v[174:175], v[122:123]
	v_fma_f64 v[190:191], v[182:183], v[72:73], v[194:195]
	v_fma_f64 v[221:222], v[174:175], v[120:121], v[142:143]
	v_add_f64 v[158:159], v[217:218], v[196:197]
	v_add_f64 v[176:177], v[217:218], -v[196:197]
	v_fma_f64 v[229:230], v[168:169], v[124:125], -v[8:9]
	v_mul_f64 v[6:7], v[2:3], s[0:1]
	v_mul_f64 v[248:249], v[160:161], s[6:7]
	v_fma_f64 v[206:207], v[172:173], v[120:121], -v[140:141]
	v_add_f64 v[172:173], v[219:220], -v[190:191]
	v_add_f64 v[213:214], v[219:220], v[190:191]
	v_add_f64 v[184:185], v[231:232], -v[221:222]
	v_add_f64 v[194:195], v[231:232], v[221:222]
	v_mul_f64 v[104:105], v[176:177], s[28:29]
	v_add_f64 v[156:157], v[227:228], v[229:230]
	v_add_f64 v[166:167], v[225:226], v[206:207]
	v_mul_f64 v[164:165], v[172:173], s[20:21]
	v_mul_f64 v[52:53], v[184:185], s[26:27]
	v_fma_f64 v[0:1], v[152:153], v[22:23], -v[4:5]
	v_mul_f64 v[4:5], v[182:183], v[74:75]
	v_add_f64 v[8:9], v[0:1], -v[26:27]
	v_fma_f64 v[180:181], v[180:181], v[72:73], -v[4:5]
	v_add_f64 v[4:5], v[0:1], v[26:27]
	v_fma_f64 v[223:224], v[162:163], v[28:29], v[188:189]
	v_mul_f64 v[162:163], v[148:149], v[118:119]
	v_add_f64 v[148:149], v[202:203], v[38:39]
	v_fma_f64 v[198:199], v[178:179], v[32:33], v[10:11]
	v_mul_f64 v[10:11], v[168:169], v[126:127]
	v_add_f64 v[168:169], v[202:203], -v[38:39]
	v_add_f64 v[174:175], v[215:216], -v[180:181]
	v_fma_f64 v[12:13], v[4:5], s[4:5], v[6:7]
	v_fma_f64 v[233:234], v[150:151], v[116:117], v[162:163]
	;; [unrolled: 1-line block ×3, first 2 shown]
	v_add_f64 v[150:151], v[215:216], v[180:181]
	v_fma_f64 v[235:236], v[170:171], v[124:125], v[10:11]
	v_add_f64 v[10:11], v[210:211], v[19:20]
	v_mul_f64 v[54:55], v[168:169], s[6:7]
	v_add_f64 v[188:189], v[223:224], -v[198:199]
	v_add_f64 v[200:201], v[223:224], v[198:199]
	v_add_f64 v[170:171], v[225:226], -v[206:207]
	v_add_f64 v[162:163], v[227:228], -v[229:230]
	v_mul_f64 v[78:79], v[174:175], s[20:21]
	v_add_f64 v[12:13], v[144:145], v[12:13]
	v_add_f64 v[178:179], v[233:234], -v[235:236]
	v_add_f64 v[182:183], v[233:234], v[235:236]
	v_fma_f64 v[142:143], v[192:193], s[16:17], -v[54:55]
	v_mul_f64 v[208:209], v[188:189], s[28:29]
	v_mul_f64 v[48:49], v[170:171], s[26:27]
	;; [unrolled: 1-line block ×3, first 2 shown]
	v_add_f64 v[14:15], v[14:15], v[12:13]
	v_mul_f64 v[12:13], v[8:9], s[0:1]
	v_mul_f64 v[76:77], v[178:179], s[34:35]
	v_fma_f64 v[140:141], v[10:11], s[4:5], -v[12:13]
	v_add_f64 v[140:141], v[146:147], v[140:141]
	v_add_f64 v[140:141], v[142:143], v[140:141]
	v_fma_f64 v[142:143], v[150:151], s[18:19], v[164:165]
	v_add_f64 v[14:15], v[142:143], v[14:15]
	v_fma_f64 v[142:143], v[213:214], s[18:19], -v[78:79]
	v_add_f64 v[140:141], v[142:143], v[140:141]
	v_fma_f64 v[142:143], v[158:159], s[22:23], v[208:209]
	v_add_f64 v[14:15], v[142:143], v[14:15]
	v_fma_f64 v[142:143], v[200:201], s[22:23], -v[104:105]
	;; [unrolled: 4-line block ×4, first 2 shown]
	v_add_f64 v[24:25], v[14:15], v[142:143]
	buffer_store_dword v22, off, s[48:51], 0 ; 4-byte Folded Spill
	buffer_store_dword v23, off, s[48:51], 0 offset:4 ; 4-byte Folded Spill
	buffer_store_dword v24, off, s[48:51], 0 offset:8 ; 4-byte Folded Spill
	;; [unrolled: 1-line block ×3, first 2 shown]
	s_waitcnt_vscnt null, 0x0
	s_barrier
	buffer_gl0_inv
	s_and_saveexec_b32 s33, vcc_lo
	s_cbranch_execz .LBB0_5
; %bb.4:
	v_mul_f64 v[14:15], v[10:11], s[4:5]
	buffer_store_dword v19, off, s[48:51], 0 offset:348 ; 4-byte Folded Spill
	buffer_store_dword v20, off, s[48:51], 0 offset:352 ; 4-byte Folded Spill
	v_mul_f64 v[19:20], v[10:11], s[24:25]
	v_mul_f64 v[22:23], v[10:11], s[22:23]
	;; [unrolled: 1-line block ×3, first 2 shown]
	s_mov_b32 s41, 0x3fcea1e5
	s_mov_b32 s40, s34
	;; [unrolled: 1-line block ×10, first 2 shown]
	buffer_store_dword v26, off, s[48:51], 0 offset:356 ; 4-byte Folded Spill
	buffer_store_dword v27, off, s[48:51], 0 offset:360 ; 4-byte Folded Spill
	;; [unrolled: 1-line block ×4, first 2 shown]
	v_mul_f64 v[36:37], v[2:3], s[26:27]
	v_mul_f64 v[38:39], v[2:3], s[28:29]
	;; [unrolled: 1-line block ×3, first 2 shown]
	v_mov_b32_e32 v247, v212
	v_mov_b32_e32 v212, v237
	v_add_f64 v[12:13], v[12:13], v[14:15]
	v_mul_f64 v[14:15], v[4:5], s[4:5]
	v_fma_f64 v[28:29], v[8:9], s[36:37], v[19:20]
	v_fma_f64 v[19:20], v[8:9], s[26:27], v[19:20]
	v_fma_f64 v[30:31], v[8:9], s[44:45], v[22:23]
	v_fma_f64 v[22:23], v[8:9], s[28:29], v[22:23]
	v_fma_f64 v[32:33], v[8:9], s[42:43], v[24:25]
	v_fma_f64 v[24:25], v[8:9], s[20:21], v[24:25]
	s_mov_b32 s47, 0x3fddbe06
	s_mov_b32 s46, s0
	v_add_f64 v[0:1], v[144:145], v[0:1]
	v_mul_f64 v[239:240], v[213:214], s[24:25]
	v_mul_f64 v[241:242], v[172:173], s[26:27]
	v_mul_f64 v[243:244], v[200:201], s[16:17]
	v_mul_f64 v[154:155], v[188:189], s[38:39]
	v_mul_f64 v[152:153], v[194:195], s[22:23]
	v_mul_f64 v[245:246], v[184:185], s[28:29]
	v_fma_f64 v[44:45], v[4:5], s[24:25], v[36:37]
	v_fma_f64 v[36:37], v[4:5], s[24:25], -v[36:37]
	v_fma_f64 v[46:47], v[4:5], s[22:23], v[38:39]
	v_fma_f64 v[38:39], v[4:5], s[22:23], -v[38:39]
	v_fma_f64 v[237:238], v[4:5], s[18:19], -v[40:41]
	v_fma_f64 v[40:41], v[4:5], s[18:19], v[40:41]
	v_add_f64 v[6:7], v[14:15], -v[6:7]
	v_mul_f64 v[14:15], v[10:11], s[30:31]
	v_mul_f64 v[10:11], v[10:11], s[16:17]
	v_add_f64 v[28:29], v[146:147], v[28:29]
	v_add_f64 v[19:20], v[146:147], v[19:20]
	;; [unrolled: 1-line block ×15, first 2 shown]
	v_fma_f64 v[26:27], v[8:9], s[40:41], v[14:15]
	v_fma_f64 v[14:15], v[8:9], s[34:35], v[14:15]
	;; [unrolled: 1-line block ×4, first 2 shown]
	v_mul_f64 v[10:11], v[2:3], s[34:35]
	v_mul_f64 v[2:3], v[2:3], s[6:7]
	;; [unrolled: 1-line block ×3, first 2 shown]
	v_add_f64 v[0:1], v[0:1], v[215:216]
	v_add_f64 v[14:15], v[146:147], v[14:15]
	v_add_f64 v[34:35], v[146:147], v[34:35]
	v_fma_f64 v[42:43], v[4:5], s[30:31], v[10:11]
	v_fma_f64 v[140:141], v[4:5], s[16:17], -v[2:3]
	v_fma_f64 v[2:3], v[4:5], s[16:17], v[2:3]
	v_fma_f64 v[10:11], v[4:5], s[30:31], -v[10:11]
	v_add_f64 v[4:5], v[146:147], v[26:27]
	v_add_f64 v[0:1], v[0:1], v[217:218]
	;; [unrolled: 1-line block ×8, first 2 shown]
	v_mul_f64 v[8:9], v[182:183], s[18:19]
	v_add_f64 v[0:1], v[0:1], v[225:226]
	buffer_store_dword v2, off, s[48:51], 0 offset:372 ; 4-byte Folded Spill
	buffer_store_dword v3, off, s[48:51], 0 offset:376 ; 4-byte Folded Spill
	v_mul_f64 v[2:3], v[192:193], s[4:5]
	v_fma_f64 v[50:51], v[162:163], s[20:21], v[8:9]
	v_add_f64 v[0:1], v[0:1], v[227:228]
	v_fma_f64 v[144:145], v[168:169], s[0:1], v[2:3]
	v_fma_f64 v[2:3], v[168:169], s[46:47], v[2:3]
	v_add_f64 v[0:1], v[0:1], v[229:230]
	v_add_f64 v[4:5], v[144:145], v[4:5]
	v_fma_f64 v[144:145], v[148:149], s[4:5], v[237:238]
	v_add_f64 v[2:3], v[2:3], v[14:15]
	v_fma_f64 v[14:15], v[148:149], s[4:5], -v[237:238]
	v_add_f64 v[0:1], v[0:1], v[206:207]
	v_mov_b32_e32 v237, v212
	v_mov_b32_e32 v212, v247
	v_add_f64 v[26:27], v[144:145], v[26:27]
	v_fma_f64 v[144:145], v[174:175], s[36:37], v[239:240]
	v_add_f64 v[10:11], v[14:15], v[10:11]
	v_mul_f64 v[14:15], v[192:193], s[18:19]
	v_add_f64 v[0:1], v[0:1], v[196:197]
	v_mul_f64 v[196:197], v[172:173], s[34:35]
	v_add_f64 v[4:5], v[144:145], v[4:5]
	v_fma_f64 v[144:145], v[150:151], s[24:25], v[241:242]
	v_add_f64 v[0:1], v[0:1], v[180:181]
	v_add_f64 v[26:27], v[144:145], v[26:27]
	v_fma_f64 v[144:145], v[176:177], s[6:7], v[243:244]
	v_add_f64 v[4:5], v[144:145], v[4:5]
	v_fma_f64 v[144:145], v[158:159], s[16:17], v[154:155]
	;; [unrolled: 2-line block ×4, first 2 shown]
	v_add_f64 v[146:147], v[50:51], v[4:5]
	v_mul_f64 v[4:5], v[178:179], s[42:43]
	v_add_f64 v[26:27], v[144:145], v[26:27]
	v_fma_f64 v[50:51], v[156:157], s[18:19], v[4:5]
	v_fma_f64 v[4:5], v[156:157], s[18:19], -v[4:5]
	v_add_f64 v[144:145], v[50:51], v[26:27]
	v_fma_f64 v[26:27], v[168:169], s[20:21], v[14:15]
	v_fma_f64 v[14:15], v[168:169], s[42:43], v[14:15]
	v_add_f64 v[26:27], v[26:27], v[28:29]
	v_mul_f64 v[28:29], v[160:161], s[42:43]
	v_add_f64 v[14:15], v[14:15], v[19:20]
	v_fma_f64 v[50:51], v[148:149], s[18:19], v[28:29]
	v_fma_f64 v[19:20], v[148:149], s[18:19], -v[28:29]
	v_fma_f64 v[28:29], v[174:175], s[26:27], v[239:240]
	v_add_f64 v[44:45], v[50:51], v[44:45]
	v_add_f64 v[19:20], v[19:20], v[36:37]
	;; [unrolled: 1-line block ×3, first 2 shown]
	v_fma_f64 v[28:29], v[150:151], s[24:25], -v[241:242]
	v_add_f64 v[10:11], v[28:29], v[10:11]
	v_mul_f64 v[28:29], v[213:214], s[16:17]
	v_fma_f64 v[36:37], v[174:175], s[38:39], v[28:29]
	v_fma_f64 v[28:29], v[174:175], s[6:7], v[28:29]
	v_add_f64 v[26:27], v[36:37], v[26:27]
	v_mul_f64 v[36:37], v[172:173], s[6:7]
	v_add_f64 v[14:15], v[28:29], v[14:15]
	v_fma_f64 v[28:29], v[150:151], s[16:17], -v[36:37]
	v_fma_f64 v[50:51], v[150:151], s[16:17], v[36:37]
	v_add_f64 v[19:20], v[28:29], v[19:20]
	v_fma_f64 v[28:29], v[176:177], s[38:39], v[243:244]
	v_add_f64 v[44:45], v[50:51], v[44:45]
	v_add_f64 v[2:3], v[28:29], v[2:3]
	v_fma_f64 v[28:29], v[158:159], s[16:17], -v[154:155]
	v_mul_f64 v[154:155], v[160:161], s[28:29]
	v_add_f64 v[10:11], v[28:29], v[10:11]
	v_mul_f64 v[28:29], v[200:201], s[30:31]
	v_fma_f64 v[36:37], v[176:177], s[34:35], v[28:29]
	v_fma_f64 v[28:29], v[176:177], s[40:41], v[28:29]
	v_add_f64 v[26:27], v[36:37], v[26:27]
	v_mul_f64 v[36:37], v[188:189], s[40:41]
	v_add_f64 v[14:15], v[28:29], v[14:15]
	v_fma_f64 v[28:29], v[158:159], s[30:31], -v[36:37]
	v_fma_f64 v[50:51], v[158:159], s[30:31], v[36:37]
	v_add_f64 v[19:20], v[28:29], v[19:20]
	v_fma_f64 v[28:29], v[170:171], s[28:29], v[152:153]
	v_add_f64 v[44:45], v[50:51], v[44:45]
	v_mul_f64 v[152:153], v[192:193], s[22:23]
	v_add_f64 v[2:3], v[28:29], v[2:3]
	v_fma_f64 v[28:29], v[166:167], s[22:23], -v[245:246]
	v_add_f64 v[10:11], v[28:29], v[10:11]
	v_mul_f64 v[28:29], v[194:195], s[4:5]
	v_fma_f64 v[36:37], v[170:171], s[0:1], v[28:29]
	v_fma_f64 v[28:29], v[170:171], s[46:47], v[28:29]
	v_add_f64 v[26:27], v[36:37], v[26:27]
	v_mul_f64 v[36:37], v[184:185], s[46:47]
	v_add_f64 v[14:15], v[28:29], v[14:15]
	v_fma_f64 v[28:29], v[166:167], s[4:5], -v[36:37]
	v_fma_f64 v[50:51], v[166:167], s[4:5], v[36:37]
	v_mul_f64 v[36:37], v[148:149], s[16:17]
	v_add_f64 v[19:20], v[28:29], v[19:20]
	v_mul_f64 v[28:29], v[192:193], s[16:17]
	v_add_f64 v[36:37], v[36:37], -v[248:249]
	v_add_f64 v[44:45], v[50:51], v[44:45]
	v_mul_f64 v[50:51], v[213:214], s[18:19]
	v_add_f64 v[28:29], v[54:55], v[28:29]
	v_add_f64 v[6:7], v[36:37], v[6:7]
	;; [unrolled: 1-line block ×4, first 2 shown]
	v_mul_f64 v[42:43], v[200:201], s[22:23]
	v_add_f64 v[12:13], v[28:29], v[12:13]
	v_mul_f64 v[28:29], v[150:151], s[18:19]
	v_add_f64 v[36:37], v[36:37], v[219:220]
	v_add_f64 v[42:43], v[104:105], v[42:43]
	;; [unrolled: 1-line block ×3, first 2 shown]
	v_add_f64 v[28:29], v[28:29], -v[164:165]
	v_mul_f64 v[50:51], v[158:159], s[22:23]
	v_add_f64 v[12:13], v[42:43], v[12:13]
	v_add_f64 v[6:7], v[28:29], v[6:7]
	;; [unrolled: 1-line block ×3, first 2 shown]
	v_add_f64 v[50:51], v[50:51], -v[208:209]
	v_mul_f64 v[42:43], v[166:167], s[24:25]
	v_mul_f64 v[36:37], v[194:195], s[24:25]
	v_add_f64 v[28:29], v[28:29], v[231:232]
	v_add_f64 v[6:7], v[50:51], v[6:7]
	v_add_f64 v[42:43], v[42:43], -v[52:53]
	s_clause 0x1
	buffer_load_dword v52, off, s[48:51], 0 offset:372
	buffer_load_dword v53, off, s[48:51], 0 offset:376
	v_add_f64 v[36:37], v[48:49], v[36:37]
	v_fma_f64 v[48:49], v[162:163], s[42:43], v[8:9]
	v_mul_f64 v[50:51], v[182:183], s[30:31]
	v_add_f64 v[28:29], v[28:29], v[233:234]
	v_add_f64 v[42:43], v[42:43], v[6:7]
	;; [unrolled: 1-line block ×4, first 2 shown]
	v_fma_f64 v[48:49], v[150:151], s[30:31], v[196:197]
	v_mul_f64 v[36:37], v[156:157], s[30:31]
	v_add_f64 v[50:51], v[106:107], v[50:51]
	v_add_f64 v[28:29], v[28:29], v[235:236]
	v_add_f64 v[36:37], v[36:37], -v[76:77]
	v_add_f64 v[28:29], v[28:29], v[221:222]
	v_add_f64 v[6:7], v[28:29], v[198:199]
	v_fma_f64 v[28:29], v[168:169], s[28:29], v[152:153]
	v_mul_f64 v[198:199], v[213:214], s[30:31]
	v_add_f64 v[6:7], v[6:7], v[190:191]
	v_add_f64 v[28:29], v[28:29], v[34:35]
	v_fma_f64 v[34:35], v[148:149], s[22:23], -v[154:155]
	v_fma_f64 v[190:191], v[174:175], s[34:35], v[198:199]
	v_add_f64 v[186:187], v[6:7], v[186:187]
	v_mul_f64 v[6:7], v[192:193], s[30:31]
	v_add_f64 v[34:35], v[34:35], v[140:141]
	v_add_f64 v[28:29], v[190:191], v[28:29]
	v_fma_f64 v[140:141], v[150:151], s[30:31], -v[196:197]
	v_mul_f64 v[190:191], v[200:201], s[24:25]
	v_mul_f64 v[192:193], v[192:193], s[24:25]
	;; [unrolled: 1-line block ×3, first 2 shown]
	v_add_f64 v[34:35], v[140:141], v[34:35]
	v_fma_f64 v[140:141], v[176:177], s[36:37], v[190:191]
	v_add_f64 v[28:29], v[140:141], v[28:29]
	v_mul_f64 v[140:141], v[188:189], s[36:37]
	v_fma_f64 v[180:181], v[158:159], s[24:25], -v[140:141]
	v_fma_f64 v[140:141], v[158:159], s[24:25], v[140:141]
	v_add_f64 v[34:35], v[180:181], v[34:35]
	v_fma_f64 v[180:181], v[168:169], s[34:35], v[6:7]
	v_fma_f64 v[6:7], v[168:169], s[40:41], v[6:7]
	v_add_f64 v[24:25], v[180:181], v[24:25]
	v_mul_f64 v[180:181], v[160:161], s[34:35]
	v_mul_f64 v[160:161], v[160:161], s[36:37]
	v_add_f64 v[6:7], v[6:7], v[32:33]
	v_fma_f64 v[32:33], v[168:169], s[44:45], v[152:153]
	v_mul_f64 v[152:153], v[172:173], s[46:47]
	v_fma_f64 v[202:203], v[148:149], s[30:31], -v[180:181]
	v_add_f64 v[8:9], v[32:33], v[210:211]
	v_mul_f64 v[32:33], v[184:185], s[42:43]
	v_mul_f64 v[184:185], v[184:185], s[40:41]
	v_add_f64 v[142:143], v[202:203], v[142:143]
	v_mul_f64 v[202:203], v[213:214], s[22:23]
	v_mul_f64 v[213:214], v[213:214], s[4:5]
	v_fma_f64 v[204:205], v[174:175], s[44:45], v[202:203]
	v_add_f64 v[24:25], v[204:205], v[24:25]
	v_mul_f64 v[204:205], v[172:173], s[44:45]
	v_mul_f64 v[172:173], v[200:201], s[18:19]
	v_fma_f64 v[206:207], v[150:151], s[22:23], -v[204:205]
	v_add_f64 v[142:143], v[206:207], v[142:143]
	v_mul_f64 v[206:207], v[200:201], s[4:5]
	v_fma_f64 v[208:209], v[176:177], s[46:47], v[206:207]
	v_fma_f64 v[200:201], v[176:177], s[0:1], v[206:207]
	v_add_f64 v[24:25], v[208:209], v[24:25]
	v_mul_f64 v[208:209], v[188:189], s[46:47]
	v_fma_f64 v[215:216], v[158:159], s[4:5], -v[208:209]
	v_add_f64 v[142:143], v[215:216], v[142:143]
	v_fma_f64 v[215:216], v[168:169], s[36:37], v[192:193]
	v_fma_f64 v[192:193], v[168:169], s[26:27], v[192:193]
	;; [unrolled: 1-line block ×3, first 2 shown]
	v_add_f64 v[22:23], v[215:216], v[22:23]
	v_fma_f64 v[215:216], v[148:149], s[24:25], -v[160:161]
	v_fma_f64 v[160:161], v[148:149], s[24:25], v[160:161]
	v_add_f64 v[30:31], v[192:193], v[30:31]
	v_fma_f64 v[192:193], v[150:151], s[22:23], v[204:205]
	v_add_f64 v[38:39], v[215:216], v[38:39]
	v_add_f64 v[46:47], v[160:161], v[46:47]
	v_fma_f64 v[160:161], v[148:149], s[30:31], v[180:181]
	v_fma_f64 v[148:149], v[148:149], s[22:23], v[154:155]
	;; [unrolled: 1-line block ×3, first 2 shown]
	v_fma_f64 v[154:155], v[150:151], s[4:5], -v[152:153]
	v_fma_f64 v[152:153], v[150:151], s[4:5], v[152:153]
	v_mul_f64 v[180:181], v[188:189], s[20:21]
	v_fma_f64 v[188:189], v[174:175], s[28:29], v[202:203]
	v_fma_f64 v[174:175], v[174:175], s[40:41], v[198:199]
	v_add_f64 v[30:31], v[168:169], v[30:31]
	v_mul_f64 v[168:169], v[194:195], s[18:19]
	v_mul_f64 v[150:151], v[194:195], s[16:17]
	v_mul_f64 v[194:195], v[194:195], s[30:31]
	v_add_f64 v[40:41], v[160:161], v[40:41]
	s_waitcnt vmcnt(0)
	v_add_f64 v[148:149], v[148:149], v[52:53]
	s_clause 0x1
	buffer_load_dword v52, off, s[48:51], 0 offset:364
	buffer_load_dword v53, off, s[48:51], 0 offset:368
	v_mul_f64 v[160:161], v[178:179], s[28:29]
	v_add_f64 v[46:47], v[152:153], v[46:47]
	v_fma_f64 v[152:153], v[176:177], s[20:21], v[172:173]
	v_fma_f64 v[198:199], v[158:159], s[18:19], -v[180:181]
	v_fma_f64 v[172:173], v[176:177], s[42:43], v[172:173]
	v_fma_f64 v[180:181], v[158:159], s[18:19], v[180:181]
	;; [unrolled: 1-line block ×3, first 2 shown]
	v_add_f64 v[8:9], v[174:175], v[8:9]
	v_mul_f64 v[190:191], v[182:183], s[4:5]
	v_add_f64 v[6:7], v[188:189], v[6:7]
	v_add_f64 v[22:23], v[215:216], v[22:23]
	;; [unrolled: 1-line block ×3, first 2 shown]
	v_mul_f64 v[154:155], v[182:183], s[22:23]
	v_mul_f64 v[174:175], v[178:179], s[46:47]
	v_add_f64 v[40:41], v[192:193], v[40:41]
	v_fma_f64 v[192:193], v[158:159], s[4:5], v[208:209]
	v_add_f64 v[48:49], v[48:49], v[148:149]
	v_fma_f64 v[202:203], v[156:157], s[22:23], v[160:161]
	v_fma_f64 v[160:161], v[156:157], s[22:23], -v[160:161]
	v_fma_f64 v[158:159], v[170:171], s[6:7], v[150:151]
	v_fma_f64 v[150:151], v[170:171], s[38:39], v[150:151]
	v_fma_f64 v[148:149], v[166:167], s[16:17], -v[196:197]
	v_add_f64 v[46:47], v[180:181], v[46:47]
	v_add_f64 v[30:31], v[172:173], v[30:31]
	;; [unrolled: 1-line block ×3, first 2 shown]
	v_mul_f64 v[172:173], v[182:183], s[24:25]
	v_add_f64 v[6:7], v[200:201], v[6:7]
	v_add_f64 v[22:23], v[152:153], v[22:23]
	v_fma_f64 v[152:153], v[170:171], s[42:43], v[168:169]
	v_add_f64 v[38:39], v[198:199], v[38:39]
	v_fma_f64 v[198:199], v[166:167], s[18:19], -v[32:33]
	v_mul_f64 v[180:181], v[178:179], s[26:27]
	v_fma_f64 v[200:201], v[170:171], s[40:41], v[194:195]
	v_mul_f64 v[182:183], v[182:183], s[16:17]
	v_mul_f64 v[178:179], v[178:179], s[38:39]
	v_fma_f64 v[194:195], v[170:171], s[34:35], v[194:195]
	v_fma_f64 v[196:197], v[166:167], s[16:17], v[196:197]
	v_add_f64 v[40:41], v[192:193], v[40:41]
	v_fma_f64 v[192:193], v[166:167], s[30:31], -v[184:185]
	v_fma_f64 v[184:185], v[166:167], s[30:31], v[184:185]
	v_add_f64 v[48:49], v[140:141], v[48:49]
	v_fma_f64 v[140:141], v[162:163], s[46:47], v[190:191]
	v_fma_f64 v[32:33], v[166:167], s[18:19], v[32:33]
	v_add_f64 v[142:143], v[148:149], v[142:143]
	v_fma_f64 v[188:189], v[162:163], s[44:45], v[154:155]
	v_fma_f64 v[154:155], v[162:163], s[28:29], v[154:155]
	v_add_f64 v[24:25], v[158:159], v[24:25]
	v_fma_f64 v[158:159], v[162:163], s[26:27], v[172:173]
	v_add_f64 v[176:177], v[150:151], v[6:7]
	v_fma_f64 v[172:173], v[162:163], s[36:37], v[172:173]
	v_add_f64 v[28:29], v[152:153], v[28:29]
	v_fma_f64 v[152:153], v[156:157], s[4:5], -v[174:175]
	v_add_f64 v[34:35], v[198:199], v[34:35]
	v_fma_f64 v[166:167], v[156:157], s[24:25], -v[180:181]
	v_add_f64 v[22:23], v[200:201], v[22:23]
	v_fma_f64 v[180:181], v[156:157], s[24:25], v[180:181]
	v_add_f64 v[30:31], v[194:195], v[30:31]
	v_add_f64 v[40:41], v[196:197], v[40:41]
	;; [unrolled: 1-line block ×4, first 2 shown]
	v_fma_f64 v[184:185], v[162:163], s[0:1], v[190:191]
	v_fma_f64 v[192:193], v[156:157], s[4:5], v[174:175]
	v_add_f64 v[32:33], v[32:33], v[48:49]
	v_add_f64 v[6:7], v[188:189], v[26:27]
	;; [unrolled: 1-line block ×4, first 2 shown]
	s_waitcnt vmcnt(0)
	v_add_f64 v[164:165], v[0:1], v[52:53]
	v_fma_f64 v[0:1], v[170:171], s[20:21], v[168:169]
	v_fma_f64 v[168:169], v[162:163], s[38:39], v[182:183]
	v_fma_f64 v[170:171], v[156:157], s[16:17], -v[178:179]
	v_fma_f64 v[182:183], v[162:163], s[6:7], v[182:183]
	v_fma_f64 v[178:179], v[156:157], s[16:17], v[178:179]
	v_add_f64 v[156:157], v[166:167], v[142:143]
	v_add_f64 v[190:191], v[0:1], v[8:9]
	;; [unrolled: 1-line block ×3, first 2 shown]
	s_clause 0x1
	buffer_load_dword v19, off, s[48:51], 0 offset:348
	buffer_load_dword v20, off, s[48:51], 0 offset:352
	v_add_f64 v[0:1], v[4:5], v[10:11]
	v_add_f64 v[10:11], v[154:155], v[14:15]
	;; [unrolled: 1-line block ×13, first 2 shown]
	s_waitcnt vmcnt(0)
	v_add_f64 v[150:151], v[186:187], v[19:20]
	s_clause 0x1
	buffer_load_dword v19, off, s[48:51], 0 offset:356
	buffer_load_dword v20, off, s[48:51], 0 offset:360
	s_waitcnt vmcnt(0)
	v_add_f64 v[148:149], v[164:165], v[19:20]
	buffer_load_dword v20, off, s[48:51], 0 offset:216 ; 4-byte Folded Reload
	v_mov_b32_e32 v19, 0x9c
	v_add_f64 v[164:165], v[178:179], v[46:47]
	s_waitcnt vmcnt(0)
	v_mul_u32_u24_sdwa v19, v20, v19 dst_sel:DWORD dst_unused:UNUSED_PAD src0_sel:WORD_0 src1_sel:DWORD
	buffer_load_dword v20, off, s[48:51], 0 offset:220 ; 4-byte Folded Reload
	s_waitcnt vmcnt(0)
	v_add_lshl_u32 v19, v19, v20, 4
	ds_write_b128 v19, v[148:151]
	ds_write_b128 v19, v[12:15] offset:192
	ds_write_b128 v19, v[152:155] offset:384
	;; [unrolled: 1-line block ×11, first 2 shown]
	s_clause 0x3
	buffer_load_dword v0, off, s[48:51], 0
	buffer_load_dword v1, off, s[48:51], 0 offset:4
	buffer_load_dword v2, off, s[48:51], 0 offset:8
	;; [unrolled: 1-line block ×3, first 2 shown]
	s_waitcnt vmcnt(0)
	ds_write_b128 v19, v[0:3] offset:2304
.LBB0_5:
	s_or_b32 exec_lo, exec_lo, s33
	v_add_co_u32 v2, s0, s14, v254
	v_add_co_ci_u32_e64 v3, null, s15, 0, s0
	v_add_co_u32 v0, s0, 0xffffffd9, v212
	v_add_co_ci_u32_e64 v1, null, 0, -1, s0
	v_add_co_u32 v4, s0, 0x800, v2
	v_add_co_ci_u32_e64 v5, s0, 0, v3, s0
	v_cmp_gt_u16_e64 s0, 39, v212
	s_waitcnt lgkmcnt(0)
	s_waitcnt_vscnt null, 0x0
	s_barrier
	buffer_gl0_inv
	global_load_dwordx4 v[144:147], v[4:5], off offset:416
	v_cndmask_b32_e64 v1, v1, v21, s0
	v_cndmask_b32_e64 v0, v0, v18, s0
	v_add_co_u32 v4, s0, 0x9a0, v2
	v_add_co_ci_u32_e64 v5, s0, 0, v3, s0
	v_lshlrev_b64 v[6:7], 5, v[0:1]
	v_mov_b32_e32 v42, 0xd21
	s_mov_b32 s6, 0xe8584caa
	global_load_dwordx4 v[148:151], v[4:5], off offset:16
	s_mov_b32 s7, 0x3febb67a
	s_mov_b32 s5, 0xbfebb67a
	v_add_co_u32 v1, s0, s14, v6
	v_add_co_ci_u32_e64 v6, s0, s15, v7, s0
	v_lshrrev_b16 v7, 2, v16
	v_add_co_u32 v4, s0, 0x800, v1
	v_add_co_ci_u32_e64 v5, s0, 0, v6, s0
	v_mul_u32_u24_sdwa v7, v7, v42 dst_sel:DWORD dst_unused:UNUSED_PAD src0_sel:WORD_0 src1_sel:DWORD
	s_mov_b32 s4, s6
	global_load_dwordx4 v[160:163], v[4:5], off offset:416
	v_add_co_u32 v4, s0, 0x9a0, v1
	v_lshrrev_b32_e32 v140, 17, v7
	v_add_co_ci_u32_e64 v5, s0, 0, v6, s0
	v_mul_lo_u16 v7, 0x9c, v140
	global_load_dwordx4 v[172:175], v[4:5], off offset:16
	v_sub_nc_u16 v141, v16, v7
	v_lshlrev_b16 v1, 5, v141
	v_and_b32_e32 v1, 0xffff, v1
	v_add_co_u32 v1, s0, s14, v1
	v_add_co_ci_u32_e64 v6, null, s15, 0, s0
	v_add_co_u32 v4, s0, 0x800, v1
	v_add_co_ci_u32_e64 v5, s0, 0, v6, s0
	global_load_dwordx4 v[176:179], v[4:5], off offset:416
	v_add_co_u32 v4, s0, 0x9a0, v1
	v_add_co_ci_u32_e64 v5, s0, 0, v6, s0
	v_lshrrev_b16 v1, 2, v17
	global_load_dwordx4 v[188:191], v[4:5], off offset:16
	ds_read_b128 v[4:7], v255 offset:7488
	ds_read_b128 v[8:11], v255 offset:9360
	;; [unrolled: 1-line block ×4, first 2 shown]
	v_mul_u32_u24_sdwa v1, v1, v42 dst_sel:DWORD dst_unused:UNUSED_PAD src0_sel:WORD_0 src1_sel:DWORD
	v_lshrrev_b32_e32 v1, 17, v1
	v_mul_lo_u16 v1, 0x9c, v1
	v_sub_nc_u16 v142, v17, v1
	v_lshlrev_b16 v1, 5, v142
	v_and_b32_e32 v1, 0xffff, v1
	v_add_co_u32 v1, s0, s14, v1
	s_waitcnt vmcnt(5) lgkmcnt(3)
	v_mul_f64 v[18:19], v[6:7], v[146:147]
	v_mul_f64 v[20:21], v[4:5], v[146:147]
	s_waitcnt vmcnt(4) lgkmcnt(1)
	v_mul_f64 v[22:23], v[14:15], v[150:151]
	v_mul_f64 v[24:25], v[12:13], v[150:151]
	v_fma_f64 v[18:19], v[4:5], v[144:145], -v[18:19]
	v_fma_f64 v[20:21], v[6:7], v[144:145], v[20:21]
	s_waitcnt vmcnt(3)
	v_mul_f64 v[4:5], v[10:11], v[162:163]
	v_mul_f64 v[6:7], v[8:9], v[162:163]
	v_fma_f64 v[22:23], v[12:13], v[148:149], -v[22:23]
	v_fma_f64 v[24:25], v[14:15], v[148:149], v[24:25]
	s_waitcnt vmcnt(2) lgkmcnt(0)
	v_mul_f64 v[12:13], v[154:155], v[174:175]
	v_mul_f64 v[14:15], v[152:153], v[174:175]
	v_fma_f64 v[26:27], v[8:9], v[160:161], -v[4:5]
	v_fma_f64 v[28:29], v[10:11], v[160:161], v[6:7]
	ds_read_b128 v[4:7], v255 offset:11232
	ds_read_b128 v[8:11], v255 offset:13104
	v_fma_f64 v[30:31], v[152:153], v[172:173], -v[12:13]
	v_fma_f64 v[32:33], v[154:155], v[172:173], v[14:15]
	s_waitcnt vmcnt(1) lgkmcnt(1)
	v_mul_f64 v[12:13], v[6:7], v[178:179]
	v_fma_f64 v[34:35], v[4:5], v[176:177], -v[12:13]
	v_mul_f64 v[4:5], v[4:5], v[178:179]
	v_fma_f64 v[36:37], v[6:7], v[176:177], v[4:5]
	ds_read_b128 v[4:7], v255 offset:18720
	ds_read_b128 v[12:15], v255 offset:20592
	s_waitcnt vmcnt(0) lgkmcnt(1)
	v_mul_f64 v[38:39], v[6:7], v[190:191]
	v_fma_f64 v[38:39], v[4:5], v[188:189], -v[38:39]
	v_mul_f64 v[4:5], v[4:5], v[190:191]
	v_fma_f64 v[40:41], v[6:7], v[188:189], v[4:5]
	v_add_co_ci_u32_e64 v7, null, s15, 0, s0
	v_add_co_u32 v4, s0, 0x800, v1
	v_add_co_ci_u32_e64 v5, s0, 0, v7, s0
	v_add_co_u32 v6, s0, 0x9a0, v1
	v_add_co_ci_u32_e64 v7, s0, 0, v7, s0
	s_clause 0x1
	global_load_dwordx4 v[200:203], v[4:5], off offset:416
	global_load_dwordx4 v[204:207], v[6:7], off offset:16
	v_cmp_lt_u16_e64 s0, 38, v212
	v_cndmask_b32_e64 v1, 0, 0x1d4, s0
	v_add_lshl_u32 v213, v0, v1, 4
	v_add_f64 v[0:1], v[34:35], v[38:39]
	s_waitcnt vmcnt(1)
	v_mul_f64 v[4:5], v[10:11], v[202:203]
	v_fma_f64 v[42:43], v[8:9], v[200:201], -v[4:5]
	v_mul_f64 v[4:5], v[8:9], v[202:203]
	v_fma_f64 v[44:45], v[10:11], v[200:201], v[4:5]
	s_waitcnt vmcnt(0) lgkmcnt(0)
	v_mul_f64 v[4:5], v[14:15], v[206:207]
	v_fma_f64 v[46:47], v[12:13], v[204:205], -v[4:5]
	v_mul_f64 v[4:5], v[12:13], v[206:207]
	v_add_f64 v[12:13], v[18:19], v[22:23]
	v_fma_f64 v[48:49], v[14:15], v[204:205], v[4:5]
	ds_read_b128 v[4:7], v255
	ds_read_b128 v[8:11], v255 offset:1872
	ds_read_b128 v[156:159], v255 offset:3744
	;; [unrolled: 1-line block ×3, first 2 shown]
	s_waitcnt lgkmcnt(0)
	s_barrier
	buffer_gl0_inv
	v_fma_f64 v[14:15], v[12:13], -0.5, v[4:5]
	v_add_f64 v[12:13], v[20:21], v[24:25]
	v_add_f64 v[4:5], v[4:5], v[18:19]
	v_add_f64 v[17:18], v[18:19], -v[22:23]
	v_fma_f64 v[0:1], v[0:1], -0.5, v[156:157]
	v_fma_f64 v[50:51], v[12:13], -0.5, v[6:7]
	v_add_f64 v[6:7], v[6:7], v[20:21]
	v_add_f64 v[4:5], v[4:5], v[22:23]
	v_add_f64 v[20:21], v[20:21], -v[24:25]
	v_fma_f64 v[154:155], v[17:18], s[6:7], v[50:51]
	v_add_f64 v[6:7], v[6:7], v[24:25]
	v_add_f64 v[23:24], v[44:45], -v[48:49]
	v_fma_f64 v[12:13], v[20:21], s[6:7], v[14:15]
	v_fma_f64 v[152:153], v[20:21], s[4:5], v[14:15]
	;; [unrolled: 1-line block ×3, first 2 shown]
	v_add_f64 v[21:22], v[26:27], -v[30:31]
	ds_write_b128 v255, v[4:7]
	v_add_f64 v[4:5], v[26:27], v[30:31]
	ds_write_b128 v255, v[12:15] offset:2496
	ds_write_b128 v255, v[152:155] offset:4992
	v_add_f64 v[12:13], v[156:157], v[34:35]
	v_add_f64 v[14:15], v[36:37], -v[40:41]
	v_fma_f64 v[17:18], v[4:5], -0.5, v[8:9]
	v_add_f64 v[4:5], v[28:29], v[32:33]
	v_add_f64 v[8:9], v[8:9], v[26:27]
	v_fma_f64 v[152:153], v[14:15], s[4:5], v[0:1]
	v_fma_f64 v[19:20], v[4:5], -0.5, v[10:11]
	v_add_f64 v[4:5], v[10:11], v[28:29]
	v_add_f64 v[10:11], v[28:29], -v[32:33]
	v_fma_f64 v[170:171], v[21:22], s[6:7], v[19:20]
	v_add_f64 v[6:7], v[4:5], v[32:33]
	v_add_f64 v[4:5], v[8:9], v[30:31]
	v_fma_f64 v[8:9], v[10:11], s[6:7], v[17:18]
	v_fma_f64 v[168:169], v[10:11], s[4:5], v[17:18]
	;; [unrolled: 1-line block ×3, first 2 shown]
	v_add_f64 v[19:20], v[34:35], -v[38:39]
	v_add_f64 v[21:22], v[164:165], v[42:43]
	ds_write_b128 v213, v[4:7]
	v_add_f64 v[4:5], v[36:37], v[40:41]
	ds_write_b128 v213, v[8:11] offset:2496
	ds_write_b128 v213, v[168:171] offset:4992
	v_add_f64 v[156:157], v[21:22], v[46:47]
	v_fma_f64 v[17:18], v[4:5], -0.5, v[158:159]
	v_add_f64 v[4:5], v[158:159], v[36:37]
	v_fma_f64 v[154:155], v[19:20], s[6:7], v[17:18]
	v_add_f64 v[6:7], v[4:5], v[40:41]
	v_add_f64 v[4:5], v[12:13], v[38:39]
	v_fma_f64 v[12:13], v[14:15], s[6:7], v[0:1]
	v_fma_f64 v[14:15], v[19:20], s[4:5], v[17:18]
	v_add_f64 v[0:1], v[42:43], v[46:47]
	v_add_f64 v[17:18], v[44:45], v[48:49]
	;; [unrolled: 1-line block ×3, first 2 shown]
	v_fma_f64 v[0:1], v[0:1], -0.5, v[164:165]
	v_fma_f64 v[17:18], v[17:18], -0.5, v[166:167]
	v_add_f64 v[158:159], v[19:20], v[48:49]
	v_add_f64 v[19:20], v[42:43], -v[46:47]
	v_fma_f64 v[164:165], v[23:24], s[6:7], v[0:1]
	v_fma_f64 v[180:181], v[23:24], s[4:5], v[0:1]
	v_mad_u16 v0, 0x1d4, v140, v141
	v_fma_f64 v[166:167], v[19:20], s[4:5], v[17:18]
	v_fma_f64 v[182:183], v[19:20], s[6:7], v[17:18]
	v_mov_b32_e32 v1, 4
	v_lshlrev_b32_sdwa v18, v1, v0 dst_sel:DWORD dst_unused:UNUSED_PAD src0_sel:DWORD src1_sel:WORD_0
	v_add_co_u32 v0, s0, 0x1800, v2
	v_lshlrev_b32_sdwa v17, v1, v142 dst_sel:DWORD dst_unused:UNUSED_PAD src0_sel:DWORD src1_sel:WORD_0
	v_add_co_ci_u32_e64 v1, s0, 0, v3, s0
	ds_write_b128 v18, v[4:7]
	ds_write_b128 v18, v[12:15] offset:2496
	ds_write_b128 v18, v[152:155] offset:4992
	;; [unrolled: 1-line block ×5, first 2 shown]
	s_waitcnt lgkmcnt(0)
	s_barrier
	buffer_gl0_inv
	global_load_dwordx4 v[152:155], v[0:1], off offset:1312
	v_add_co_u32 v0, s0, 0x1d20, v2
	v_add_co_ci_u32_e64 v1, s0, 0, v3, s0
	global_load_dwordx4 v[156:159], v[0:1], off offset:16
	ds_read_b128 v[0:3], v255 offset:7488
	ds_read_b128 v[4:7], v255 offset:9360
	s_waitcnt vmcnt(1) lgkmcnt(1)
	v_mul_f64 v[8:9], v[2:3], v[154:155]
	v_mul_f64 v[10:11], v[0:1], v[154:155]
	v_fma_f64 v[12:13], v[0:1], v[152:153], -v[8:9]
	v_fma_f64 v[14:15], v[2:3], v[152:153], v[10:11]
	ds_read_b128 v[0:3], v255 offset:14976
	ds_read_b128 v[8:11], v255 offset:16848
	s_waitcnt vmcnt(0) lgkmcnt(1)
	v_mul_f64 v[19:20], v[2:3], v[158:159]
	v_fma_f64 v[19:20], v[0:1], v[156:157], -v[19:20]
	v_mul_f64 v[0:1], v[0:1], v[158:159]
	v_fma_f64 v[21:22], v[2:3], v[156:157], v[0:1]
	v_lshlrev_b32_e32 v0, 4, v237
	v_add_co_u32 v2, s0, s14, v0
	v_add_co_ci_u32_e64 v3, null, s15, 0, s0
	v_add_co_u32 v0, s0, 0x1800, v2
	v_add_co_ci_u32_e64 v1, s0, 0, v3, s0
	v_add_co_u32 v2, s0, 0x1d20, v2
	v_add_co_ci_u32_e64 v3, s0, 0, v3, s0
	s_clause 0x1
	global_load_dwordx4 v[168:171], v[0:1], off offset:1312
	global_load_dwordx4 v[164:167], v[2:3], off offset:16
	s_waitcnt vmcnt(1)
	v_mul_f64 v[0:1], v[6:7], v[170:171]
	v_fma_f64 v[23:24], v[4:5], v[168:169], -v[0:1]
	v_mul_f64 v[0:1], v[4:5], v[170:171]
	v_fma_f64 v[25:26], v[6:7], v[168:169], v[0:1]
	s_waitcnt vmcnt(0) lgkmcnt(0)
	v_mul_f64 v[0:1], v[10:11], v[166:167]
	v_fma_f64 v[27:28], v[8:9], v[164:165], -v[0:1]
	v_mul_f64 v[0:1], v[8:9], v[166:167]
	v_fma_f64 v[29:30], v[10:11], v[164:165], v[0:1]
	v_lshlrev_b32_e32 v0, 5, v16
	v_add_co_u32 v2, s0, s14, v0
	v_add_co_ci_u32_e64 v3, null, s15, 0, s0
	v_add_co_u32 v0, s0, 0x1800, v2
	v_add_co_ci_u32_e64 v1, s0, 0, v3, s0
	v_add_co_u32 v2, s0, 0x1d20, v2
	v_add_co_ci_u32_e64 v3, s0, 0, v3, s0
	s_clause 0x1
	global_load_dwordx4 v[184:187], v[0:1], off offset:1312
	global_load_dwordx4 v[180:183], v[2:3], off offset:16
	ds_read_b128 v[0:3], v255 offset:11232
	ds_read_b128 v[4:7], v255 offset:13104
	s_waitcnt vmcnt(1) lgkmcnt(1)
	v_mul_f64 v[8:9], v[2:3], v[186:187]
	v_fma_f64 v[31:32], v[0:1], v[184:185], -v[8:9]
	v_mul_f64 v[0:1], v[0:1], v[186:187]
	v_fma_f64 v[33:34], v[2:3], v[184:185], v[0:1]
	ds_read_b128 v[0:3], v255 offset:18720
	ds_read_b128 v[8:11], v255 offset:20592
	buffer_load_dword v49, off, s[48:51], 0 offset:240 ; 4-byte Folded Reload
	s_waitcnt vmcnt(1) lgkmcnt(1)
	v_mul_f64 v[35:36], v[2:3], v[182:183]
	v_fma_f64 v[35:36], v[0:1], v[180:181], -v[35:36]
	v_mul_f64 v[0:1], v[0:1], v[182:183]
	v_fma_f64 v[37:38], v[2:3], v[180:181], v[0:1]
	s_waitcnt vmcnt(0)
	v_add_co_u32 v2, s0, s14, v49
	v_add_co_ci_u32_e64 v3, null, s15, 0, s0
	v_add_co_u32 v0, s0, 0x1800, v2
	v_add_co_ci_u32_e64 v1, s0, 0, v3, s0
	v_add_co_u32 v2, s0, 0x1d20, v2
	v_add_co_ci_u32_e64 v3, s0, 0, v3, s0
	s_clause 0x1
	global_load_dwordx4 v[192:195], v[0:1], off offset:1312
	global_load_dwordx4 v[196:199], v[2:3], off offset:16
	s_waitcnt vmcnt(1)
	v_mul_f64 v[0:1], v[6:7], v[194:195]
	v_fma_f64 v[39:40], v[4:5], v[192:193], -v[0:1]
	v_mul_f64 v[0:1], v[4:5], v[194:195]
	v_fma_f64 v[41:42], v[6:7], v[192:193], v[0:1]
	s_waitcnt vmcnt(0) lgkmcnt(0)
	v_mul_f64 v[0:1], v[10:11], v[198:199]
	v_fma_f64 v[43:44], v[8:9], v[196:197], -v[0:1]
	v_mul_f64 v[0:1], v[8:9], v[198:199]
	v_add_f64 v[8:9], v[12:13], v[19:20]
	v_fma_f64 v[45:46], v[10:11], v[196:197], v[0:1]
	ds_read_b128 v[0:3], v255
	ds_read_b128 v[4:7], v255 offset:1872
	ds_read_b128 v[218:221], v255 offset:3744
	;; [unrolled: 1-line block ×3, first 2 shown]
	s_waitcnt lgkmcnt(3)
	v_fma_f64 v[10:11], v[8:9], -0.5, v[0:1]
	v_add_f64 v[8:9], v[14:15], v[21:22]
	v_add_f64 v[0:1], v[0:1], v[12:13]
	v_fma_f64 v[47:48], v[8:9], -0.5, v[2:3]
	v_add_f64 v[2:3], v[2:3], v[14:15]
	v_add_f64 v[14:15], v[14:15], -v[21:22]
	v_add_f64 v[0:1], v[0:1], v[19:20]
	v_add_f64 v[19:20], v[12:13], -v[19:20]
	v_add_f64 v[2:3], v[2:3], v[21:22]
	v_fma_f64 v[8:9], v[14:15], s[6:7], v[10:11]
	v_fma_f64 v[12:13], v[14:15], s[4:5], v[10:11]
	;; [unrolled: 1-line block ×4, first 2 shown]
	v_add_f64 v[19:20], v[23:24], v[27:28]
	v_add_f64 v[21:22], v[25:26], v[29:30]
	s_waitcnt lgkmcnt(2)
	v_fma_f64 v[19:20], v[19:20], -0.5, v[4:5]
	v_fma_f64 v[21:22], v[21:22], -0.5, v[6:7]
	v_add_f64 v[6:7], v[6:7], v[25:26]
	v_add_f64 v[4:5], v[4:5], v[23:24]
	v_add_f64 v[25:26], v[25:26], -v[29:30]
	v_add_f64 v[23:24], v[23:24], -v[27:28]
	v_add_f64 v[6:7], v[6:7], v[29:30]
	v_add_f64 v[4:5], v[4:5], v[27:28]
	v_fma_f64 v[208:209], v[25:26], s[6:7], v[19:20]
	v_fma_f64 v[214:215], v[25:26], s[4:5], v[19:20]
	;; [unrolled: 1-line block ×4, first 2 shown]
	v_add_f64 v[19:20], v[31:32], v[35:36]
	v_add_f64 v[21:22], v[33:34], v[37:38]
	s_waitcnt lgkmcnt(1)
	v_add_f64 v[23:24], v[220:221], v[33:34]
	v_add_f64 v[27:28], v[33:34], -v[37:38]
	v_add_f64 v[25:26], v[218:219], v[31:32]
	v_fma_f64 v[19:20], v[19:20], -0.5, v[218:219]
	v_fma_f64 v[21:22], v[21:22], -0.5, v[220:221]
	v_add_f64 v[220:221], v[23:24], v[37:38]
	v_add_f64 v[23:24], v[31:32], -v[35:36]
	v_add_f64 v[218:219], v[25:26], v[35:36]
	s_waitcnt lgkmcnt(0)
	v_add_f64 v[25:26], v[222:223], v[39:40]
	v_fma_f64 v[226:227], v[27:28], s[6:7], v[19:20]
	v_fma_f64 v[230:231], v[27:28], s[4:5], v[19:20]
	v_add_f64 v[19:20], v[39:40], v[43:44]
	v_fma_f64 v[228:229], v[23:24], s[4:5], v[21:22]
	v_fma_f64 v[232:233], v[23:24], s[6:7], v[21:22]
	v_add_f64 v[21:22], v[41:42], v[45:46]
	v_add_f64 v[23:24], v[224:225], v[41:42]
	v_add_f64 v[27:28], v[41:42], -v[45:46]
	v_fma_f64 v[19:20], v[19:20], -0.5, v[222:223]
	v_add_f64 v[222:223], v[25:26], v[43:44]
	v_fma_f64 v[21:22], v[21:22], -0.5, v[224:225]
	v_add_f64 v[224:225], v[23:24], v[45:46]
	v_add_f64 v[23:24], v[39:40], -v[43:44]
	v_fma_f64 v[234:235], v[27:28], s[6:7], v[19:20]
	v_fma_f64 v[238:239], v[27:28], s[4:5], v[19:20]
	;; [unrolled: 1-line block ×4, first 2 shown]
	ds_write_b128 v255, v[0:3]
	ds_write_b128 v255, v[4:7] offset:1872
	ds_write_b128 v255, v[218:221] offset:3744
	;; [unrolled: 1-line block ×11, first 2 shown]
	v_lshlrev_b32_e32 v0, 4, v212
	s_waitcnt lgkmcnt(0)
	s_barrier
	buffer_gl0_inv
	v_add_co_u32 v16, s0, s12, v0
	v_add_co_ci_u32_e64 v23, null, s13, 0, s0
	v_add_co_u32 v0, s0, 0x5000, v16
	v_add_co_ci_u32_e64 v1, s0, 0, v23, s0
	v_add_co_u32 v4, s0, 0x57c0, v16
	v_add_co_ci_u32_e64 v5, s0, 0, v23, s0
	s_clause 0x1
	global_load_dwordx4 v[0:3], v[0:1], off offset:1984
	global_load_dwordx4 v[4:7], v[4:5], off offset:1872
	ds_read_b128 v[8:11], v255
	ds_read_b128 v[12:15], v255 offset:1872
	s_waitcnt vmcnt(1) lgkmcnt(1)
	v_mul_f64 v[19:20], v[10:11], v[2:3]
	v_mul_f64 v[2:3], v[8:9], v[2:3]
	v_fma_f64 v[8:9], v[8:9], v[0:1], -v[19:20]
	v_fma_f64 v[10:11], v[10:11], v[0:1], v[2:3]
	v_add_co_u32 v0, s0, 0x8000, v16
	v_add_co_ci_u32_e64 v1, s0, 0, v23, s0
	v_add_co_u32 v19, s0, 0x8800, v16
	v_add_co_ci_u32_e64 v20, s0, 0, v23, s0
	s_clause 0x1
	global_load_dwordx4 v[0:3], v[0:1], off offset:928
	global_load_dwordx4 v[208:211], v[19:20], off offset:752
	ds_read_b128 v[214:217], v255 offset:11232
	ds_read_b128 v[218:221], v255 offset:13104
	s_waitcnt vmcnt(1) lgkmcnt(1)
	v_mul_f64 v[19:20], v[216:217], v[2:3]
	v_mul_f64 v[2:3], v[214:215], v[2:3]
	v_fma_f64 v[214:215], v[214:215], v[0:1], -v[19:20]
	v_fma_f64 v[216:217], v[216:217], v[0:1], v[2:3]
	v_mul_f64 v[0:1], v[14:15], v[6:7]
	v_mul_f64 v[2:3], v[12:13], v[6:7]
	s_waitcnt vmcnt(0) lgkmcnt(0)
	v_mul_f64 v[6:7], v[218:219], v[210:211]
	v_fma_f64 v[0:1], v[12:13], v[4:5], -v[0:1]
	v_fma_f64 v[2:3], v[14:15], v[4:5], v[2:3]
	v_mul_f64 v[4:5], v[220:221], v[210:211]
	v_add_co_u32 v12, s0, 0x6000, v16
	v_add_co_ci_u32_e64 v13, s0, 0, v23, s0
	v_add_co_u32 v19, s0, 0x9000, v16
	v_add_co_ci_u32_e64 v20, s0, 0, v23, s0
	v_fma_f64 v[6:7], v[220:221], v[208:209], v[6:7]
	v_fma_f64 v[4:5], v[218:219], v[208:209], -v[4:5]
	s_clause 0x1
	global_load_dwordx4 v[12:15], v[12:13], off offset:1632
	global_load_dwordx4 v[208:211], v[19:20], off offset:576
	ds_read_b128 v[218:221], v255 offset:3744
	ds_read_b128 v[222:225], v255 offset:5616
	s_waitcnt vmcnt(1) lgkmcnt(1)
	v_mul_f64 v[19:20], v[220:221], v[14:15]
	v_mul_f64 v[14:15], v[218:219], v[14:15]
	v_fma_f64 v[218:219], v[218:219], v[12:13], -v[19:20]
	v_fma_f64 v[220:221], v[220:221], v[12:13], v[14:15]
	ds_read_b128 v[12:15], v255 offset:14976
	ds_read_b128 v[226:229], v255 offset:16848
	s_waitcnt vmcnt(0) lgkmcnt(1)
	v_mul_f64 v[19:20], v[14:15], v[210:211]
	v_mul_f64 v[21:22], v[12:13], v[210:211]
	v_fma_f64 v[12:13], v[12:13], v[208:209], -v[19:20]
	v_add_co_u32 v19, s0, 0x6800, v16
	v_add_co_ci_u32_e64 v20, s0, 0, v23, s0
	v_fma_f64 v[14:15], v[14:15], v[208:209], v[21:22]
	v_add_co_u32 v21, s0, 0x9800, v16
	v_add_co_ci_u32_e64 v22, s0, 0, v23, s0
	s_clause 0x1
	global_load_dwordx4 v[208:211], v[19:20], off offset:1456
	global_load_dwordx4 v[230:233], v[21:22], off offset:400
	s_waitcnt vmcnt(1)
	v_mul_f64 v[19:20], v[224:225], v[210:211]
	v_mul_f64 v[21:22], v[222:223], v[210:211]
	v_fma_f64 v[222:223], v[222:223], v[208:209], -v[19:20]
	s_waitcnt vmcnt(0) lgkmcnt(0)
	v_mul_f64 v[19:20], v[228:229], v[232:233]
	v_fma_f64 v[224:225], v[224:225], v[208:209], v[21:22]
	v_mul_f64 v[21:22], v[226:227], v[232:233]
	v_fma_f64 v[208:209], v[226:227], v[230:231], -v[19:20]
	v_add_co_u32 v19, s0, 0x7000, v16
	v_add_co_ci_u32_e64 v20, s0, 0, v23, s0
	v_fma_f64 v[210:211], v[228:229], v[230:231], v[21:22]
	v_add_co_u32 v21, s0, 0xa000, v16
	v_add_co_ci_u32_e64 v22, s0, 0, v23, s0
	s_clause 0x1
	global_load_dwordx4 v[226:229], v[19:20], off offset:1280
	global_load_dwordx4 v[230:233], v[21:22], off offset:224
	ds_read_b128 v[234:237], v255 offset:7488
	ds_read_b128 v[238:241], v255 offset:9360
	s_waitcnt vmcnt(1) lgkmcnt(1)
	v_mul_f64 v[19:20], v[236:237], v[228:229]
	v_mul_f64 v[21:22], v[234:235], v[228:229]
	v_fma_f64 v[234:235], v[234:235], v[226:227], -v[19:20]
	v_fma_f64 v[236:237], v[236:237], v[226:227], v[21:22]
	ds_read_b128 v[226:229], v255 offset:18720
	ds_read_b128 v[242:245], v255 offset:20592
	s_waitcnt vmcnt(0) lgkmcnt(1)
	v_mul_f64 v[19:20], v[228:229], v[232:233]
	v_mul_f64 v[21:22], v[226:227], v[232:233]
	v_fma_f64 v[226:227], v[226:227], v[230:231], -v[19:20]
	v_add_co_u32 v19, s0, 0x7800, v16
	v_add_co_ci_u32_e64 v20, s0, 0, v23, s0
	v_fma_f64 v[228:229], v[228:229], v[230:231], v[21:22]
	v_add_co_u32 v21, s0, 0xa800, v16
	v_add_co_ci_u32_e64 v22, s0, 0, v23, s0
	s_clause 0x1
	global_load_dwordx4 v[230:233], v[19:20], off offset:1104
	global_load_dwordx4 v[246:249], v[21:22], off offset:48
	v_lshlrev_b32_e32 v16, 5, v212
	s_waitcnt vmcnt(1)
	v_mul_f64 v[19:20], v[240:241], v[232:233]
	v_mul_f64 v[21:22], v[238:239], v[232:233]
	v_fma_f64 v[238:239], v[238:239], v[230:231], -v[19:20]
	v_fma_f64 v[240:241], v[240:241], v[230:231], v[21:22]
	s_waitcnt vmcnt(0) lgkmcnt(0)
	v_mul_f64 v[19:20], v[244:245], v[248:249]
	v_mul_f64 v[21:22], v[242:243], v[248:249]
	v_fma_f64 v[230:231], v[242:243], v[246:247], -v[19:20]
	v_fma_f64 v[232:233], v[244:245], v[246:247], v[21:22]
	ds_write_b128 v255, v[8:11]
	ds_write_b128 v255, v[214:217] offset:11232
	ds_write_b128 v255, v[0:3] offset:1872
	;; [unrolled: 1-line block ×11, first 2 shown]
	s_waitcnt lgkmcnt(0)
	s_barrier
	buffer_gl0_inv
	ds_read_b128 v[0:3], v255 offset:11232
	ds_read_b128 v[4:7], v255
	ds_read_b128 v[8:11], v255 offset:1872
	ds_read_b128 v[12:15], v255 offset:13104
	;; [unrolled: 1-line block ×10, first 2 shown]
	s_waitcnt lgkmcnt(0)
	s_barrier
	buffer_gl0_inv
	v_add_f64 v[0:1], v[4:5], -v[0:1]
	v_add_f64 v[2:3], v[6:7], -v[2:3]
	v_fma_f64 v[4:5], v[4:5], 2.0, -v[0:1]
	v_fma_f64 v[6:7], v[6:7], 2.0, -v[2:3]
	ds_write_b128 v16, v[0:3] offset:16
	ds_write_b128 v16, v[4:7]
	v_add_f64 v[0:1], v[8:9], -v[12:13]
	v_add_f64 v[2:3], v[10:11], -v[14:15]
	v_fma_f64 v[4:5], v[8:9], 2.0, -v[0:1]
	buffer_load_dword v8, off, s[48:51], 0 offset:252 ; 4-byte Folded Reload
	v_fma_f64 v[6:7], v[10:11], 2.0, -v[2:3]
	s_waitcnt vmcnt(0)
	ds_write_b128 v8, v[4:7]
	ds_write_b128 v8, v[0:3] offset:16
	buffer_load_dword v8, off, s[48:51], 0 offset:248 ; 4-byte Folded Reload
	v_add_f64 v[0:1], v[208:209], -v[218:219]
	v_add_f64 v[2:3], v[210:211], -v[220:221]
	v_fma_f64 v[4:5], v[208:209], 2.0, -v[0:1]
	v_fma_f64 v[6:7], v[210:211], 2.0, -v[2:3]
	s_waitcnt vmcnt(0)
	ds_write_b128 v8, v[4:7]
	ds_write_b128 v8, v[0:3] offset:16
	v_add_f64 v[0:1], v[214:215], -v[222:223]
	v_add_f64 v[2:3], v[216:217], -v[224:225]
	v_fma_f64 v[4:5], v[214:215], 2.0, -v[0:1]
	v_fma_f64 v[6:7], v[216:217], 2.0, -v[2:3]
	ds_write_b128 v49, v[4:7]
	ds_write_b128 v49, v[0:3] offset:16
	buffer_load_dword v8, off, s[48:51], 0 offset:256 ; 4-byte Folded Reload
	v_add_f64 v[0:1], v[226:227], -v[234:235]
	v_add_f64 v[2:3], v[228:229], -v[236:237]
	v_fma_f64 v[4:5], v[226:227], 2.0, -v[0:1]
	v_fma_f64 v[6:7], v[228:229], 2.0, -v[2:3]
	s_waitcnt vmcnt(0)
	ds_write_b128 v8, v[4:7]
	ds_write_b128 v8, v[0:3] offset:16
	buffer_load_dword v8, off, s[48:51], 0 offset:244 ; 4-byte Folded Reload
	v_add_f64 v[0:1], v[230:231], -v[238:239]
	v_add_f64 v[2:3], v[232:233], -v[240:241]
	v_fma_f64 v[4:5], v[230:231], 2.0, -v[0:1]
	v_fma_f64 v[6:7], v[232:233], 2.0, -v[2:3]
	s_waitcnt vmcnt(0)
	ds_write_b128 v8, v[4:7]
	ds_write_b128 v8, v[0:3] offset:16
	s_waitcnt lgkmcnt(0)
	s_barrier
	buffer_gl0_inv
	ds_read_b128 v[0:3], v255 offset:16848
	ds_read_b128 v[4:7], v255 offset:14976
	s_waitcnt lgkmcnt(1)
	v_mul_f64 v[8:9], v[66:67], v[2:3]
	v_fma_f64 v[19:20], v[64:65], v[0:1], v[8:9]
	v_mul_f64 v[0:1], v[66:67], v[0:1]
	v_fma_f64 v[21:22], v[64:65], v[2:3], -v[0:1]
	ds_read_b128 v[0:3], v255 offset:11232
	ds_read_b128 v[8:11], v255 offset:13104
	s_waitcnt lgkmcnt(1)
	v_mul_f64 v[12:13], v[62:63], v[2:3]
	v_fma_f64 v[12:13], v[60:61], v[0:1], v[12:13]
	v_mul_f64 v[0:1], v[62:63], v[0:1]
	v_fma_f64 v[14:15], v[60:61], v[2:3], -v[0:1]
	v_mul_f64 v[0:1], v[62:63], v[6:7]
	v_fma_f64 v[23:24], v[60:61], v[4:5], v[0:1]
	v_mul_f64 v[0:1], v[62:63], v[4:5]
	v_fma_f64 v[25:26], v[60:61], v[6:7], -v[0:1]
	ds_read_b128 v[0:3], v255 offset:18720
	ds_read_b128 v[4:7], v255 offset:20592
	s_waitcnt lgkmcnt(1)
	v_mul_f64 v[27:28], v[62:63], v[2:3]
	v_fma_f64 v[27:28], v[60:61], v[0:1], v[27:28]
	v_mul_f64 v[0:1], v[62:63], v[0:1]
	v_fma_f64 v[29:30], v[60:61], v[2:3], -v[0:1]
	s_clause 0x1
	buffer_load_dword v2, off, s[48:51], 0 offset:232
	buffer_load_dword v3, off, s[48:51], 0 offset:236
	s_waitcnt vmcnt(0) lgkmcnt(0)
	v_mul_f64 v[0:1], v[2:3], v[6:7]
	v_mul_f64 v[2:3], v[2:3], v[4:5]
	v_fma_f64 v[31:32], v[56:57], v[4:5], v[0:1]
	s_clause 0x1
	buffer_load_dword v4, off, s[48:51], 0 offset:224
	buffer_load_dword v5, off, s[48:51], 0 offset:228
	v_fma_f64 v[33:34], v[56:57], v[6:7], -v[2:3]
	v_mul_f64 v[0:1], v[58:59], v[10:11]
	v_mul_f64 v[2:3], v[58:59], v[8:9]
	s_waitcnt vmcnt(0)
	v_fma_f64 v[35:36], v[4:5], v[8:9], v[0:1]
	v_fma_f64 v[37:38], v[4:5], v[10:11], -v[2:3]
	ds_read_b128 v[0:3], v255
	ds_read_b128 v[4:7], v255 offset:1872
	s_waitcnt lgkmcnt(1)
	v_add_f64 v[8:9], v[0:1], -v[12:13]
	v_add_f64 v[10:11], v[2:3], -v[14:15]
	ds_read_b128 v[12:15], v255 offset:3744
	ds_read_b128 v[56:59], v255 offset:5616
	;; [unrolled: 1-line block ×4, first 2 shown]
	s_waitcnt lgkmcnt(0)
	s_barrier
	buffer_gl0_inv
	buffer_load_dword v16, off, s[48:51], 0 offset:292 ; 4-byte Folded Reload
	v_fma_f64 v[0:1], v[0:1], 2.0, -v[8:9]
	v_fma_f64 v[2:3], v[2:3], 2.0, -v[10:11]
	s_waitcnt vmcnt(0)
	ds_write_b128 v16, v[8:11] offset:32
	ds_write_b128 v16, v[0:3]
	buffer_load_dword v8, off, s[48:51], 0 offset:296 ; 4-byte Folded Reload
	v_add_f64 v[0:1], v[4:5], -v[35:36]
	v_add_f64 v[2:3], v[6:7], -v[37:38]
	;; [unrolled: 1-line block ×3, first 2 shown]
	v_fma_f64 v[4:5], v[4:5], 2.0, -v[0:1]
	v_fma_f64 v[6:7], v[6:7], 2.0, -v[2:3]
	s_waitcnt vmcnt(0)
	ds_write_b128 v8, v[4:7]
	ds_write_b128 v8, v[0:3] offset:32
	buffer_load_dword v8, off, s[48:51], 0 offset:288 ; 4-byte Folded Reload
	v_add_f64 v[0:1], v[12:13], -v[23:24]
	v_add_f64 v[2:3], v[14:15], -v[25:26]
	v_fma_f64 v[4:5], v[12:13], 2.0, -v[0:1]
	v_fma_f64 v[6:7], v[14:15], 2.0, -v[2:3]
	v_fma_f64 v[14:15], v[66:67], 2.0, -v[10:11]
	s_waitcnt vmcnt(0)
	ds_write_b128 v8, v[4:7]
	ds_write_b128 v8, v[0:3] offset:32
	buffer_load_dword v8, off, s[48:51], 0 offset:284 ; 4-byte Folded Reload
	v_add_f64 v[0:1], v[56:57], -v[19:20]
	v_add_f64 v[2:3], v[58:59], -v[21:22]
	v_fma_f64 v[4:5], v[56:57], 2.0, -v[0:1]
	v_fma_f64 v[6:7], v[58:59], 2.0, -v[2:3]
	s_waitcnt vmcnt(0)
	ds_write_b128 v8, v[4:7]
	ds_write_b128 v8, v[0:3] offset:32
	buffer_load_dword v16, off, s[48:51], 0 offset:280 ; 4-byte Folded Reload
	v_add_f64 v[0:1], v[60:61], -v[27:28]
	v_add_f64 v[2:3], v[62:63], -v[29:30]
	;; [unrolled: 1-line block ×3, first 2 shown]
	v_fma_f64 v[4:5], v[60:61], 2.0, -v[0:1]
	v_fma_f64 v[6:7], v[62:63], 2.0, -v[2:3]
	;; [unrolled: 1-line block ×3, first 2 shown]
	s_waitcnt vmcnt(0)
	ds_write_b128 v16, v[4:7]
	ds_write_b128 v16, v[0:3] offset:32
	buffer_load_dword v0, off, s[48:51], 0 offset:272 ; 4-byte Folded Reload
	s_waitcnt vmcnt(0)
	ds_write_b128 v0, v[12:15]
	ds_write_b128 v0, v[8:11] offset:32
	s_waitcnt lgkmcnt(0)
	s_barrier
	buffer_gl0_inv
	ds_read_b128 v[0:3], v255 offset:7488
	ds_read_b128 v[4:7], v255 offset:9360
	;; [unrolled: 1-line block ×3, first 2 shown]
	s_waitcnt lgkmcnt(2)
	v_mul_f64 v[12:13], v[94:95], v[2:3]
	v_mul_f64 v[14:15], v[94:95], v[0:1]
	s_waitcnt lgkmcnt(1)
	v_mul_f64 v[23:24], v[110:111], v[6:7]
	v_fma_f64 v[12:13], v[92:93], v[0:1], v[12:13]
	v_fma_f64 v[14:15], v[92:93], v[2:3], -v[14:15]
	ds_read_b128 v[0:3], v255 offset:16848
	s_waitcnt lgkmcnt(1)
	v_mul_f64 v[19:20], v[86:87], v[10:11]
	v_mul_f64 v[21:22], v[86:87], v[8:9]
	v_fma_f64 v[23:24], v[108:109], v[4:5], v[23:24]
	s_waitcnt lgkmcnt(0)
	v_mul_f64 v[25:26], v[102:103], v[2:3]
	v_mul_f64 v[27:28], v[102:103], v[0:1]
	v_fma_f64 v[19:20], v[84:85], v[8:9], v[19:20]
	v_mul_f64 v[8:9], v[110:111], v[4:5]
	v_fma_f64 v[21:22], v[84:85], v[10:11], -v[21:22]
	v_fma_f64 v[25:26], v[100:101], v[0:1], v[25:26]
	v_fma_f64 v[27:28], v[100:101], v[2:3], -v[27:28]
	v_fma_f64 v[29:30], v[108:109], v[6:7], -v[8:9]
	ds_read_b128 v[4:7], v255 offset:11232
	ds_read_b128 v[8:11], v255 offset:13104
	;; [unrolled: 1-line block ×3, first 2 shown]
	v_add_f64 v[45:46], v[14:15], v[21:22]
	v_add_f64 v[47:48], v[23:24], v[25:26]
	s_waitcnt lgkmcnt(2)
	v_mul_f64 v[31:32], v[98:99], v[6:7]
	v_mul_f64 v[33:34], v[98:99], v[4:5]
	s_waitcnt lgkmcnt(1)
	v_mul_f64 v[39:40], v[82:83], v[10:11]
	v_add_f64 v[49:50], v[29:30], v[27:28]
	v_fma_f64 v[31:32], v[96:97], v[4:5], v[31:32]
	v_fma_f64 v[33:34], v[96:97], v[6:7], -v[33:34]
	ds_read_b128 v[4:7], v255 offset:20592
	s_waitcnt lgkmcnt(1)
	v_mul_f64 v[35:36], v[90:91], v[2:3]
	v_mul_f64 v[37:38], v[90:91], v[0:1]
	s_waitcnt lgkmcnt(0)
	v_mul_f64 v[41:42], v[70:71], v[6:7]
	v_mul_f64 v[43:44], v[70:71], v[4:5]
	v_fma_f64 v[35:36], v[88:89], v[0:1], v[35:36]
	v_mul_f64 v[0:1], v[82:83], v[8:9]
	v_fma_f64 v[8:9], v[80:81], v[8:9], v[39:40]
	v_add_f64 v[39:40], v[12:13], v[19:20]
	v_fma_f64 v[37:38], v[88:89], v[2:3], -v[37:38]
	v_fma_f64 v[41:42], v[68:69], v[4:5], v[41:42]
	v_fma_f64 v[43:44], v[68:69], v[6:7], -v[43:44]
	ds_read_b128 v[4:7], v255 offset:1872
	v_fma_f64 v[10:11], v[80:81], v[10:11], -v[0:1]
	ds_read_b128 v[0:3], v255
	s_waitcnt lgkmcnt(1)
	v_add_f64 v[60:61], v[4:5], v[23:24]
	v_fma_f64 v[4:5], v[47:48], -0.5, v[4:5]
	v_fma_f64 v[47:48], v[49:50], -0.5, v[6:7]
	s_waitcnt lgkmcnt(0)
	v_add_f64 v[56:57], v[2:3], v[14:15]
	v_fma_f64 v[39:40], v[39:40], -0.5, v[0:1]
	v_add_f64 v[0:1], v[0:1], v[12:13]
	v_fma_f64 v[45:46], v[45:46], -0.5, v[2:3]
	v_add_f64 v[6:7], v[6:7], v[29:30]
	v_add_f64 v[14:15], v[14:15], -v[21:22]
	v_add_f64 v[12:13], v[12:13], -v[19:20]
	;; [unrolled: 1-line block ×3, first 2 shown]
	v_add_f64 v[49:50], v[31:32], v[35:36]
	v_add_f64 v[23:24], v[23:24], -v[25:26]
	v_add_f64 v[96:97], v[60:61], v[25:26]
	v_add_f64 v[58:59], v[56:57], v[21:22]
	;; [unrolled: 1-line block ×3, first 2 shown]
	ds_read_b128 v[0:3], v255 offset:3744
	v_add_f64 v[98:99], v[6:7], v[27:28]
	v_fma_f64 v[60:61], v[14:15], s[4:5], v[39:40]
	v_fma_f64 v[108:109], v[14:15], s[6:7], v[39:40]
	;; [unrolled: 1-line block ×6, first 2 shown]
	ds_read_b128 v[4:7], v255 offset:5616
	v_add_f64 v[14:15], v[33:34], v[37:38]
	s_waitcnt lgkmcnt(0)
	s_barrier
	buffer_gl0_inv
	v_fma_f64 v[66:67], v[23:24], s[6:7], v[47:48]
	v_fma_f64 v[82:83], v[23:24], s[4:5], v[47:48]
	v_add_f64 v[19:20], v[33:34], -v[37:38]
	v_fma_f64 v[12:13], v[49:50], -0.5, v[0:1]
	v_add_f64 v[0:1], v[0:1], v[31:32]
	v_fma_f64 v[14:15], v[14:15], -0.5, v[2:3]
	v_add_f64 v[2:3], v[2:3], v[33:34]
	v_fma_f64 v[84:85], v[19:20], s[4:5], v[12:13]
	v_add_f64 v[68:69], v[0:1], v[35:36]
	v_add_f64 v[0:1], v[31:32], -v[35:36]
	v_fma_f64 v[88:89], v[19:20], s[6:7], v[12:13]
	v_add_f64 v[70:71], v[2:3], v[37:38]
	v_add_f64 v[2:3], v[10:11], v[43:44]
	v_fma_f64 v[86:87], v[0:1], s[6:7], v[14:15]
	v_fma_f64 v[90:91], v[0:1], s[4:5], v[14:15]
	v_add_f64 v[0:1], v[8:9], v[41:42]
	v_fma_f64 v[2:3], v[2:3], -0.5, v[6:7]
	v_add_f64 v[6:7], v[6:7], v[10:11]
	v_add_f64 v[10:11], v[10:11], -v[43:44]
	v_fma_f64 v[0:1], v[0:1], -0.5, v[4:5]
	v_add_f64 v[4:5], v[4:5], v[8:9]
	v_add_f64 v[94:95], v[6:7], v[43:44]
	v_fma_f64 v[100:101], v[10:11], s[4:5], v[0:1]
	v_fma_f64 v[208:209], v[10:11], s[6:7], v[0:1]
	buffer_load_dword v0, off, s[48:51], 0 offset:276 ; 4-byte Folded Reload
	v_add_f64 v[92:93], v[4:5], v[41:42]
	v_add_f64 v[4:5], v[8:9], -v[41:42]
	s_waitcnt vmcnt(0)
	ds_write_b128 v0, v[56:59]
	ds_write_b128 v0, v[60:63] offset:64
	ds_write_b128 v0, v[108:111] offset:128
	buffer_load_dword v0, off, s[48:51], 0 offset:268 ; 4-byte Folded Reload
	v_fma_f64 v[102:103], v[4:5], s[6:7], v[2:3]
	v_fma_f64 v[210:211], v[4:5], s[4:5], v[2:3]
	s_waitcnt vmcnt(0)
	ds_write_b128 v0, v[96:99]
	ds_write_b128 v0, v[64:67] offset:64
	ds_write_b128 v0, v[80:83] offset:128
	buffer_load_dword v0, off, s[48:51], 0 offset:264 ; 4-byte Folded Reload
	s_waitcnt vmcnt(0)
	ds_write_b128 v0, v[68:71]
	ds_write_b128 v0, v[84:87] offset:64
	ds_write_b128 v0, v[88:91] offset:128
	buffer_load_dword v0, off, s[48:51], 0 offset:260 ; 4-byte Folded Reload
	s_waitcnt vmcnt(0)
	ds_write_b128 v0, v[92:95]
	ds_write_b128 v0, v[100:103] offset:64
	ds_write_b128 v0, v[208:211] offset:128
	s_waitcnt lgkmcnt(0)
	s_barrier
	buffer_gl0_inv
	s_and_saveexec_b32 s0, vcc_lo
	s_cbranch_execz .LBB0_7
; %bb.6:
	ds_read_b128 v[56:59], v255
	ds_read_b128 v[60:63], v255 offset:1728
	ds_read_b128 v[108:111], v255 offset:3456
	;; [unrolled: 1-line block ×12, first 2 shown]
	s_waitcnt lgkmcnt(0)
	buffer_store_dword v0, off, s[48:51], 0 ; 4-byte Folded Spill
	buffer_store_dword v1, off, s[48:51], 0 offset:4 ; 4-byte Folded Spill
	buffer_store_dword v2, off, s[48:51], 0 offset:8 ; 4-byte Folded Spill
	;; [unrolled: 1-line block ×3, first 2 shown]
.LBB0_7:
	s_or_b32 exec_lo, exec_lo, s0
	s_waitcnt_vscnt null, 0x0
	s_barrier
	buffer_gl0_inv
	s_and_saveexec_b32 s33, vcc_lo
	s_cbranch_execz .LBB0_9
; %bb.8:
	s_clause 0xf
	buffer_load_dword v39, off, s[48:51], 0 offset:300
	buffer_load_dword v40, off, s[48:51], 0 offset:304
	;; [unrolled: 1-line block ×4, first 2 shown]
	buffer_load_dword v43, off, s[48:51], 0
	buffer_load_dword v44, off, s[48:51], 0 offset:4
	buffer_load_dword v45, off, s[48:51], 0 offset:8
	;; [unrolled: 1-line block ×11, first 2 shown]
	v_mul_f64 v[0:1], v[134:135], v[110:111]
	v_mul_f64 v[2:3], v[134:135], v[108:109]
	;; [unrolled: 1-line block ×11, first 2 shown]
	s_mov_b32 s21, 0x3fddbe06
	s_mov_b32 s20, 0x4267c47c
	;; [unrolled: 1-line block ×11, first 2 shown]
	v_fma_f64 v[114:115], v[132:133], v[108:109], v[0:1]
	v_fma_f64 v[110:111], v[132:133], v[110:111], -v[2:3]
	v_mul_f64 v[0:1], v[122:123], v[88:89]
	v_mul_f64 v[2:3], v[118:119], v[70:71]
	v_fma_f64 v[50:51], v[136:137], v[208:209], v[4:5]
	v_fma_f64 v[108:109], v[136:137], v[210:211], -v[6:7]
	v_mul_f64 v[4:5], v[74:75], v[102:103]
	v_mul_f64 v[6:7], v[74:75], v[100:101]
	v_fma_f64 v[98:99], v[128:129], v[98:99], -v[10:11]
	v_fma_f64 v[106:107], v[112:113], v[80:81], v[12:13]
	v_mul_f64 v[12:13], v[126:127], v[86:87]
	v_fma_f64 v[96:97], v[128:129], v[96:97], v[8:9]
	v_fma_f64 v[112:113], v[112:113], v[82:83], -v[14:15]
	s_mov_b32 s17, 0xbfea55e2
	s_mov_b32 s16, s6
	;; [unrolled: 1-line block ×11, first 2 shown]
	v_fma_f64 v[80:81], v[120:121], v[90:91], -v[0:1]
	s_mov_b32 s23, 0x3fbedb7d
	v_add_f64 v[90:91], v[114:115], -v[50:51]
	v_add_f64 v[0:1], v[110:111], -v[108:109]
	s_mov_b32 s31, 0x3fe22d96
	s_mov_b32 s29, 0xbfe7f3cc
	;; [unrolled: 1-line block ×4, first 2 shown]
	v_fma_f64 v[84:85], v[124:125], v[84:85], v[12:13]
	s_mov_b32 s35, 0xbfd6b1d8
	v_add_f64 v[210:211], v[110:111], v[108:109]
	s_mov_b32 s37, 0x3fcea1e5
	s_mov_b32 s36, s12
	;; [unrolled: 1-line block ×4, first 2 shown]
	v_mov_b32_e32 v16, 0x9c
	v_add_f64 v[228:229], v[112:113], v[80:81]
	v_mul_f64 v[12:13], v[90:91], s[20:21]
	s_waitcnt vmcnt(12)
	v_mul_f64 v[19:20], v[41:42], v[62:63]
	s_waitcnt vmcnt(8)
	v_mul_f64 v[23:24], v[252:253], v[45:46]
	s_waitcnt vmcnt(4)
	v_mul_f64 v[27:28], v[54:55], v[66:67]
	s_waitcnt vmcnt(0)
	v_mul_f64 v[10:11], v[78:79], v[94:95]
	v_mul_f64 v[29:30], v[54:55], v[64:65]
	;; [unrolled: 1-line block ×4, first 2 shown]
	v_fma_f64 v[78:79], v[120:121], v[88:89], v[21:22]
	v_fma_f64 v[88:89], v[116:117], v[68:69], v[2:3]
	v_fma_f64 v[2:3], v[124:125], v[86:87], -v[35:36]
	v_mul_f64 v[37:38], v[252:253], v[43:44]
	v_fma_f64 v[8:9], v[39:40], v[60:61], v[19:20]
	v_fma_f64 v[60:61], v[72:73], v[100:101], v[4:5]
	v_fma_f64 v[72:73], v[72:73], v[102:103], -v[6:7]
	v_fma_f64 v[100:101], v[52:53], v[64:65], v[27:28]
	v_fma_f64 v[74:75], v[76:77], v[92:93], v[10:11]
	v_fma_f64 v[102:103], v[52:53], v[66:67], -v[29:30]
	v_fma_f64 v[76:77], v[76:77], v[94:95], -v[31:32]
	;; [unrolled: 1-line block ×3, first 2 shown]
	v_fma_f64 v[54:55], v[250:251], v[43:44], v[23:24]
	v_fma_f64 v[14:15], v[39:40], v[62:63], -v[25:26]
	v_add_f64 v[66:67], v[106:107], -v[78:79]
	v_add_f64 v[52:53], v[112:113], -v[80:81]
	;; [unrolled: 1-line block ×3, first 2 shown]
	v_fma_f64 v[48:49], v[250:251], v[45:46], -v[37:38]
	v_mul_f64 v[10:11], v[0:1], s[20:21]
	v_add_f64 v[232:233], v[106:107], v[78:79]
	v_add_f64 v[240:241], v[88:89], v[84:85]
	v_add_f64 v[86:87], v[96:97], -v[60:61]
	v_add_f64 v[82:83], v[98:99], -v[72:73]
	v_add_f64 v[216:217], v[96:97], v[60:61]
	v_add_f64 v[70:71], v[100:101], -v[74:75]
	v_add_f64 v[224:225], v[100:101], v[74:75]
	v_add_f64 v[68:69], v[102:103], -v[76:77]
	v_add_f64 v[64:65], v[92:93], -v[2:3]
	v_add_f64 v[120:121], v[8:9], -v[54:55]
	v_add_f64 v[132:133], v[8:9], v[54:55]
	v_mul_f64 v[4:5], v[66:67], s[20:21]
	v_mul_f64 v[6:7], v[52:53], s[20:21]
	;; [unrolled: 1-line block ×3, first 2 shown]
	v_add_f64 v[104:105], v[14:15], v[48:49]
	v_add_f64 v[35:36], v[14:15], -v[48:49]
	v_add_f64 v[14:15], v[58:59], v[14:15]
	v_add_f64 v[220:221], v[102:103], v[76:77]
	v_mul_f64 v[230:231], v[66:67], s[14:15]
	v_mul_f64 v[234:235], v[52:53], s[14:15]
	v_add_f64 v[236:237], v[92:93], v[2:3]
	v_mul_f64 v[238:239], v[62:63], s[4:5]
	v_mul_f64 v[94:95], v[86:87], s[20:21]
	;; [unrolled: 1-line block ×8, first 2 shown]
	s_mov_b32 s21, 0xbfddbe06
	v_mul_f64 v[118:119], v[120:121], s[12:13]
	v_mul_f64 v[116:117], v[120:121], s[0:1]
	;; [unrolled: 1-line block ×12, first 2 shown]
	s_mov_b32 s21, 0x3fe5384d
	s_mov_b32 s20, s0
	v_add_f64 v[14:15], v[14:15], v[110:111]
	v_fma_f64 v[37:38], v[104:105], s[24:25], v[118:119]
	v_fma_f64 v[39:40], v[104:105], s[24:25], -v[118:119]
	v_fma_f64 v[41:42], v[104:105], s[28:29], v[116:117]
	v_fma_f64 v[43:44], v[104:105], s[28:29], -v[116:117]
	;; [unrolled: 2-line block ×4, first 2 shown]
	v_fma_f64 v[118:119], v[104:105], s[30:31], -v[31:32]
	v_fma_f64 v[31:32], v[104:105], s[30:31], v[31:32]
	v_fma_f64 v[120:121], v[104:105], s[26:27], -v[33:34]
	v_fma_f64 v[33:34], v[104:105], s[26:27], v[33:34]
	v_mul_f64 v[104:105], v[35:36], s[12:13]
	v_mul_f64 v[35:36], v[35:36], s[16:17]
	v_fma_f64 v[136:137], v[132:133], s[28:29], -v[124:125]
	v_fma_f64 v[138:139], v[132:133], s[34:35], -v[126:127]
	v_fma_f64 v[124:125], v[132:133], s[28:29], v[124:125]
	v_fma_f64 v[126:127], v[132:133], s[34:35], v[126:127]
	v_fma_f64 v[140:141], v[132:133], s[22:23], -v[128:129]
	v_fma_f64 v[128:129], v[132:133], s[22:23], v[128:129]
	v_fma_f64 v[208:209], v[132:133], s[26:27], v[130:131]
	v_fma_f64 v[130:131], v[132:133], s[26:27], -v[130:131]
	v_add_f64 v[37:38], v[58:59], v[37:38]
	v_add_f64 v[39:40], v[58:59], v[39:40]
	;; [unrolled: 1-line block ×12, first 2 shown]
	v_fma_f64 v[134:135], v[132:133], s[24:25], -v[104:105]
	v_fma_f64 v[104:105], v[132:133], s[24:25], v[104:105]
	v_fma_f64 v[142:143], v[132:133], s[30:31], v[35:36]
	v_fma_f64 v[35:36], v[132:133], s[30:31], -v[35:36]
	v_add_f64 v[124:125], v[56:57], v[124:125]
	v_add_f64 v[126:127], v[56:57], v[126:127]
	v_add_f64 v[140:141], v[56:57], v[140:141]
	v_add_f64 v[128:129], v[56:57], v[128:129]
	v_add_f64 v[208:209], v[56:57], v[208:209]
	v_add_f64 v[130:131], v[56:57], v[130:131]
	v_add_f64 v[14:15], v[14:15], v[98:99]
	v_add_f64 v[132:133], v[56:57], v[134:135]
	v_add_f64 v[134:135], v[56:57], v[136:137]
	v_add_f64 v[136:137], v[56:57], v[138:139]
	v_add_f64 v[138:139], v[56:57], v[8:9]
	v_fma_f64 v[8:9], v[210:211], s[26:27], v[12:13]
	v_add_f64 v[104:105], v[56:57], v[104:105]
	v_add_f64 v[142:143], v[56:57], v[142:143]
	;; [unrolled: 1-line block ×3, first 2 shown]
	v_fma_f64 v[12:13], v[210:211], s[26:27], -v[12:13]
	v_add_f64 v[14:15], v[14:15], v[102:103]
	v_add_f64 v[110:111], v[138:139], v[114:115]
	;; [unrolled: 1-line block ×6, first 2 shown]
	v_mul_f64 v[112:113], v[70:71], s[20:21]
	v_add_f64 v[96:97], v[110:111], v[96:97]
	v_fma_f64 v[56:57], v[37:38], s[26:27], -v[10:11]
	v_fma_f64 v[10:11], v[37:38], s[26:27], v[10:11]
	v_add_f64 v[14:15], v[14:15], v[92:93]
	v_add_f64 v[96:97], v[96:97], v[100:101]
	;; [unrolled: 1-line block ×7, first 2 shown]
	v_fma_f64 v[58:59], v[132:133], s[28:29], v[214:215]
	v_fma_f64 v[39:40], v[132:133], s[28:29], -v[214:215]
	v_add_f64 v[2:3], v[2:3], v[80:81]
	v_add_f64 v[88:89], v[96:97], v[88:89]
	v_mul_f64 v[96:97], v[0:1], s[14:15]
	v_add_f64 v[8:9], v[58:59], v[8:9]
	v_fma_f64 v[58:59], v[216:217], s[28:29], -v[218:219]
	v_add_f64 v[12:13], v[39:40], v[12:13]
	v_fma_f64 v[39:40], v[216:217], s[28:29], v[218:219]
	v_add_f64 v[2:3], v[2:3], v[76:77]
	v_fma_f64 v[76:77], v[220:221], s[28:29], -v[112:113]
	v_add_f64 v[14:15], v[88:89], v[84:85]
	v_mul_f64 v[84:85], v[90:91], s[14:15]
	v_mul_f64 v[88:89], v[90:91], s[16:17]
	v_add_f64 v[56:57], v[58:59], v[56:57]
	v_fma_f64 v[58:59], v[220:221], s[30:31], v[222:223]
	v_add_f64 v[10:11], v[39:40], v[10:11]
	v_fma_f64 v[39:40], v[220:221], s[30:31], -v[222:223]
	v_add_f64 v[72:73], v[2:3], v[72:73]
	v_add_f64 v[14:15], v[14:15], v[78:79]
	v_fma_f64 v[92:93], v[210:211], s[30:31], -v[88:89]
	v_fma_f64 v[88:89], v[210:211], s[30:31], v[88:89]
	v_add_f64 v[8:9], v[58:59], v[8:9]
	v_fma_f64 v[58:59], v[224:225], s[30:31], -v[226:227]
	v_add_f64 v[12:13], v[39:40], v[12:13]
	v_fma_f64 v[39:40], v[224:225], s[30:31], v[226:227]
	v_add_f64 v[72:73], v[72:73], v[108:109]
	v_add_f64 v[14:15], v[14:15], v[74:75]
	v_add_f64 v[33:34], v[88:89], v[33:34]
	v_add_f64 v[56:57], v[58:59], v[56:57]
	v_fma_f64 v[58:59], v[228:229], s[34:35], v[230:231]
	v_add_f64 v[10:11], v[39:40], v[10:11]
	v_fma_f64 v[39:40], v[228:229], s[34:35], -v[230:231]
	v_add_f64 v[14:15], v[14:15], v[60:61]
	v_add_f64 v[8:9], v[58:59], v[8:9]
	v_fma_f64 v[58:59], v[232:233], s[34:35], -v[234:235]
	v_add_f64 v[12:13], v[39:40], v[12:13]
	v_fma_f64 v[39:40], v[232:233], s[34:35], v[234:235]
	v_add_f64 v[56:57], v[58:59], v[56:57]
	v_fma_f64 v[58:59], v[236:237], s[22:23], v[238:239]
	v_add_f64 v[39:40], v[39:40], v[10:11]
	v_fma_f64 v[10:11], v[236:237], s[22:23], -v[238:239]
	v_add_f64 v[58:59], v[58:59], v[8:9]
	v_mul_f64 v[8:9], v[64:65], s[4:5]
	v_add_f64 v[10:11], v[10:11], v[12:13]
	v_mul_f64 v[12:13], v[90:91], s[4:5]
	v_fma_f64 v[242:243], v[240:241], s[22:23], -v[8:9]
	v_fma_f64 v[8:9], v[240:241], s[22:23], v[8:9]
	v_add_f64 v[56:57], v[242:243], v[56:57]
	v_add_f64 v[8:9], v[8:9], v[39:40]
	v_fma_f64 v[39:40], v[210:211], s[22:23], v[12:13]
	v_fma_f64 v[12:13], v[210:211], s[22:23], -v[12:13]
	v_add_f64 v[39:40], v[39:40], v[41:42]
	v_mul_f64 v[41:42], v[0:1], s[4:5]
	v_add_f64 v[12:13], v[12:13], v[43:44]
	v_fma_f64 v[43:44], v[232:233], s[26:27], -v[6:7]
	v_fma_f64 v[6:7], v[232:233], s[26:27], v[6:7]
	v_fma_f64 v[104:105], v[37:38], s[22:23], -v[41:42]
	v_fma_f64 v[41:42], v[37:38], s[22:23], v[41:42]
	v_add_f64 v[104:105], v[104:105], v[134:135]
	v_mul_f64 v[134:135], v[86:87], s[16:17]
	v_add_f64 v[41:42], v[41:42], v[124:125]
	v_fma_f64 v[214:215], v[132:133], s[30:31], v[134:135]
	v_add_f64 v[39:40], v[214:215], v[39:40]
	v_mul_f64 v[214:215], v[82:83], s[16:17]
	v_fma_f64 v[218:219], v[216:217], s[30:31], -v[214:215]
	v_add_f64 v[104:105], v[218:219], v[104:105]
	v_mul_f64 v[218:219], v[70:71], s[36:37]
	v_fma_f64 v[222:223], v[220:221], s[24:25], v[218:219]
	v_add_f64 v[39:40], v[222:223], v[39:40]
	v_mul_f64 v[222:223], v[68:69], s[36:37]
	v_fma_f64 v[226:227], v[224:225], s[24:25], -v[222:223]
	v_fma_f64 v[114:115], v[224:225], s[24:25], v[222:223]
	v_add_f64 v[104:105], v[226:227], v[104:105]
	v_fma_f64 v[226:227], v[228:229], s[26:27], v[4:5]
	v_fma_f64 v[4:5], v[228:229], s[26:27], -v[4:5]
	v_add_f64 v[43:44], v[43:44], v[104:105]
	v_fma_f64 v[104:105], v[132:133], s[30:31], -v[134:135]
	v_add_f64 v[39:40], v[226:227], v[39:40]
	v_add_f64 v[12:13], v[104:105], v[12:13]
	v_mul_f64 v[104:105], v[90:91], s[20:21]
	v_fma_f64 v[124:125], v[210:211], s[28:29], v[104:105]
	v_fma_f64 v[104:105], v[210:211], s[28:29], -v[104:105]
	v_add_f64 v[45:46], v[124:125], v[45:46]
	v_fma_f64 v[124:125], v[216:217], s[30:31], v[214:215]
	v_add_f64 v[19:20], v[104:105], v[19:20]
	v_add_f64 v[41:42], v[124:125], v[41:42]
	v_mul_f64 v[124:125], v[0:1], s[20:21]
	v_add_f64 v[41:42], v[114:115], v[41:42]
	v_fma_f64 v[134:135], v[37:38], s[28:29], -v[124:125]
	v_mul_f64 v[114:115], v[90:91], s[12:13]
	v_fma_f64 v[104:105], v[37:38], s[28:29], v[124:125]
	v_fma_f64 v[90:91], v[210:211], s[34:35], -v[84:85]
	v_fma_f64 v[84:85], v[210:211], s[34:35], v[84:85]
	v_add_f64 v[41:42], v[6:7], v[41:42]
	v_add_f64 v[134:135], v[134:135], v[136:137]
	v_fma_f64 v[136:137], v[132:133], s[26:27], v[94:95]
	v_fma_f64 v[124:125], v[210:211], s[24:25], v[114:115]
	v_fma_f64 v[94:95], v[132:133], s[26:27], -v[94:95]
	v_fma_f64 v[100:101], v[210:211], s[24:25], -v[114:115]
	v_add_f64 v[104:105], v[104:105], v[126:127]
	v_mul_f64 v[6:7], v[68:69], s[18:19]
	v_add_f64 v[31:32], v[84:85], v[31:32]
	v_add_f64 v[45:46], v[136:137], v[45:46]
	v_fma_f64 v[136:137], v[220:221], s[24:25], -v[218:219]
	v_add_f64 v[116:117], v[124:125], v[116:117]
	v_add_f64 v[19:20], v[94:95], v[19:20]
	v_fma_f64 v[94:95], v[216:217], s[26:27], v[122:123]
	v_add_f64 v[21:22], v[100:101], v[21:22]
	v_mul_f64 v[124:125], v[0:1], s[12:13]
	v_mul_f64 v[0:1], v[0:1], s[16:17]
	v_add_f64 v[12:13], v[136:137], v[12:13]
	v_fma_f64 v[136:137], v[216:217], s[26:27], -v[122:123]
	v_mul_f64 v[122:123], v[66:67], s[36:37]
	v_add_f64 v[94:95], v[94:95], v[104:105]
	v_mul_f64 v[104:105], v[82:83], s[38:39]
	v_fma_f64 v[126:127], v[37:38], s[24:25], -v[124:125]
	v_add_f64 v[4:5], v[4:5], v[12:13]
	v_add_f64 v[134:135], v[136:137], v[134:135]
	v_mul_f64 v[136:137], v[70:71], s[18:19]
	v_mul_f64 v[12:13], v[86:87], s[38:39]
	v_fma_f64 v[110:111], v[216:217], s[34:35], -v[104:105]
	v_add_f64 v[126:127], v[126:127], v[140:141]
	v_fma_f64 v[88:89], v[216:217], s[34:35], v[104:105]
	v_mul_f64 v[70:71], v[70:71], s[14:15]
	v_fma_f64 v[100:101], v[220:221], s[22:23], -v[136:137]
	v_fma_f64 v[98:99], v[132:133], s[34:35], v[12:13]
	v_fma_f64 v[12:13], v[132:133], s[34:35], -v[12:13]
	v_add_f64 v[110:111], v[110:111], v[126:127]
	v_fma_f64 v[138:139], v[220:221], s[22:23], v[136:137]
	v_fma_f64 v[126:127], v[228:229], s[24:25], v[122:123]
	v_add_f64 v[19:20], v[100:101], v[19:20]
	v_add_f64 v[98:99], v[98:99], v[116:117]
	v_fma_f64 v[116:117], v[224:225], s[22:23], -v[6:7]
	v_fma_f64 v[6:7], v[224:225], s[22:23], v[6:7]
	v_mul_f64 v[100:101], v[52:53], s[36:37]
	v_add_f64 v[12:13], v[12:13], v[21:22]
	v_fma_f64 v[21:22], v[228:229], s[24:25], -v[122:123]
	v_add_f64 v[45:46], v[138:139], v[45:46]
	v_add_f64 v[116:117], v[116:117], v[134:135]
	;; [unrolled: 1-line block ×3, first 2 shown]
	v_fma_f64 v[94:95], v[220:221], s[26:27], v[23:24]
	v_fma_f64 v[102:103], v[232:233], s[24:25], -v[100:101]
	v_add_f64 v[19:20], v[21:22], v[19:20]
	v_fma_f64 v[21:22], v[232:233], s[24:25], v[100:101]
	v_fma_f64 v[23:24], v[220:221], s[26:27], -v[23:24]
	v_add_f64 v[45:46], v[126:127], v[45:46]
	v_add_f64 v[94:95], v[94:95], v[98:99]
	v_fma_f64 v[98:99], v[224:225], s[26:27], -v[25:26]
	v_fma_f64 v[25:26], v[224:225], s[26:27], v[25:26]
	v_add_f64 v[21:22], v[21:22], v[6:7]
	v_mul_f64 v[6:7], v[66:67], s[16:17]
	v_add_f64 v[12:13], v[23:24], v[12:13]
	v_fma_f64 v[23:24], v[37:38], s[24:25], v[124:125]
	v_add_f64 v[102:103], v[102:103], v[116:117]
	v_add_f64 v[116:117], v[14:15], v[50:51]
	;; [unrolled: 1-line block ×3, first 2 shown]
	v_fma_f64 v[110:111], v[37:38], s[30:31], v[0:1]
	v_fma_f64 v[0:1], v[37:38], s[30:31], -v[0:1]
	v_fma_f64 v[100:101], v[228:229], s[30:31], v[6:7]
	v_fma_f64 v[6:7], v[228:229], s[30:31], -v[6:7]
	v_add_f64 v[23:24], v[23:24], v[128:129]
	v_add_f64 v[78:79], v[110:111], v[208:209]
	;; [unrolled: 1-line block ×4, first 2 shown]
	v_mul_f64 v[100:101], v[52:53], s[16:17]
	v_add_f64 v[23:24], v[88:89], v[23:24]
	v_fma_f64 v[106:107], v[232:233], s[30:31], -v[100:101]
	v_add_f64 v[23:24], v[25:26], v[23:24]
	v_fma_f64 v[100:101], v[232:233], s[30:31], v[100:101]
	v_add_f64 v[98:99], v[106:107], v[98:99]
	v_fma_f64 v[106:107], v[37:38], s[34:35], v[96:97]
	v_fma_f64 v[96:97], v[37:38], s[34:35], -v[96:97]
	v_add_f64 v[37:38], v[90:91], v[118:119]
	v_add_f64 v[90:91], v[92:93], v[120:121]
	v_mul_f64 v[92:93], v[86:87], s[12:13]
	v_mul_f64 v[86:87], v[86:87], s[18:19]
	v_add_f64 v[23:24], v[100:101], v[23:24]
	v_add_f64 v[80:81], v[106:107], v[142:143]
	;; [unrolled: 1-line block ×3, first 2 shown]
	v_mul_f64 v[106:107], v[82:83], s[12:13]
	v_mul_f64 v[82:83], v[82:83], s[18:19]
	v_fma_f64 v[84:85], v[132:133], s[24:25], -v[92:93]
	v_fma_f64 v[96:97], v[132:133], s[22:23], -v[86:87]
	v_fma_f64 v[86:87], v[132:133], s[22:23], v[86:87]
	v_fma_f64 v[92:93], v[132:133], s[24:25], v[92:93]
	;; [unrolled: 1-line block ×3, first 2 shown]
	v_fma_f64 v[106:107], v[216:217], s[24:25], -v[106:107]
	v_fma_f64 v[110:111], v[216:217], s[22:23], v[82:83]
	v_fma_f64 v[82:83], v[216:217], s[22:23], -v[82:83]
	v_add_f64 v[33:34], v[86:87], v[33:34]
	v_mul_f64 v[86:87], v[62:63], s[6:7]
	v_add_f64 v[37:38], v[84:85], v[37:38]
	v_mul_f64 v[84:85], v[62:63], s[14:15]
	;; [unrolled: 2-line block ×3, first 2 shown]
	v_mul_f64 v[68:69], v[68:69], s[20:21]
	v_add_f64 v[31:32], v[92:93], v[31:32]
	v_add_f64 v[80:81], v[104:105], v[80:81]
	v_add_f64 v[35:36], v[106:107], v[35:36]
	v_add_f64 v[74:75], v[110:111], v[78:79]
	v_fma_f64 v[78:79], v[220:221], s[34:35], -v[70:71]
	v_fma_f64 v[104:105], v[220:221], s[28:29], v[112:113]
	v_fma_f64 v[25:26], v[236:237], s[30:31], v[86:87]
	v_fma_f64 v[86:87], v[236:237], s[30:31], -v[86:87]
	v_fma_f64 v[88:89], v[236:237], s[34:35], v[84:85]
	v_mul_f64 v[112:113], v[66:67], s[4:5]
	v_fma_f64 v[92:93], v[224:225], s[34:35], v[96:97]
	v_fma_f64 v[106:107], v[224:225], s[28:29], v[68:69]
	v_fma_f64 v[68:69], v[224:225], s[28:29], -v[68:69]
	v_add_f64 v[0:1], v[82:83], v[0:1]
	v_mul_f64 v[66:67], v[66:67], s[0:1]
	v_mul_f64 v[82:83], v[52:53], s[0:1]
	v_fma_f64 v[70:71], v[220:221], s[34:35], v[70:71]
	v_mul_f64 v[52:53], v[52:53], s[4:5]
	v_fma_f64 v[96:97], v[224:225], s[34:35], -v[96:97]
	v_mul_f64 v[110:111], v[64:65], s[14:15]
	v_add_f64 v[37:38], v[76:77], v[37:38]
	v_fma_f64 v[84:85], v[236:237], s[34:35], -v[84:85]
	v_add_f64 v[76:77], v[78:79], v[90:91]
	v_mul_f64 v[90:91], v[64:65], s[0:1]
	v_add_f64 v[31:32], v[104:105], v[31:32]
	v_add_f64 v[50:51], v[86:87], v[19:20]
	buffer_load_dword v19, off, s[48:51], 0 offset:216 ; 4-byte Folded Reload
	v_add_f64 v[2:3], v[88:89], v[39:40]
	v_mul_f64 v[39:40], v[64:65], s[6:7]
	v_add_f64 v[74:75], v[92:93], v[74:75]
	v_mul_f64 v[88:89], v[62:63], s[0:1]
	v_add_f64 v[80:81], v[106:107], v[80:81]
	v_add_f64 v[35:36], v[68:69], v[35:36]
	v_fma_f64 v[68:69], v[228:229], s[28:29], -v[66:67]
	v_mul_f64 v[62:63], v[62:63], s[12:13]
	v_mul_f64 v[64:65], v[64:65], s[12:13]
	v_fma_f64 v[106:107], v[232:233], s[28:29], v[82:83]
	v_fma_f64 v[92:93], v[228:229], s[22:23], -v[112:113]
	v_add_f64 v[33:34], v[70:71], v[33:34]
	v_fma_f64 v[70:71], v[232:233], s[22:23], v[52:53]
	v_fma_f64 v[104:105], v[228:229], s[22:23], v[112:113]
	v_fma_f64 v[52:53], v[232:233], s[22:23], -v[52:53]
	v_fma_f64 v[66:67], v[228:229], s[28:29], v[66:67]
	v_fma_f64 v[82:83], v[232:233], s[28:29], -v[82:83]
	v_add_f64 v[0:1], v[96:97], v[0:1]
	v_fma_f64 v[60:61], v[240:241], s[34:35], v[110:111]
	v_add_f64 v[112:113], v[6:7], v[12:13]
	v_fma_f64 v[114:115], v[240:241], s[28:29], -v[90:91]
	v_fma_f64 v[90:91], v[240:241], s[28:29], v[90:91]
	v_fma_f64 v[78:79], v[240:241], s[34:35], -v[110:111]
	v_fma_f64 v[110:111], v[240:241], s[30:31], -v[39:40]
	v_fma_f64 v[39:40], v[240:241], s[30:31], v[39:40]
	v_fma_f64 v[96:97], v[236:237], s[28:29], v[88:89]
	v_fma_f64 v[88:89], v[236:237], s[28:29], -v[88:89]
	v_add_f64 v[6:7], v[84:85], v[4:5]
	v_add_f64 v[68:69], v[68:69], v[76:77]
	v_fma_f64 v[108:109], v[236:237], s[24:25], -v[62:63]
	v_fma_f64 v[118:119], v[240:241], s[24:25], v[64:65]
	v_add_f64 v[106:107], v[106:107], v[74:75]
	v_add_f64 v[37:38], v[92:93], v[37:38]
	v_fma_f64 v[92:93], v[236:237], s[26:27], -v[27:28]
	v_fma_f64 v[76:77], v[240:241], s[26:27], v[29:30]
	v_add_f64 v[80:81], v[70:71], v[80:81]
	v_fma_f64 v[27:28], v[236:237], s[26:27], v[27:28]
	v_add_f64 v[31:32], v[104:105], v[31:32]
	v_fma_f64 v[29:30], v[240:241], s[26:27], -v[29:30]
	v_add_f64 v[35:36], v[52:53], v[35:36]
	v_fma_f64 v[100:101], v[236:237], s[24:25], v[62:63]
	v_add_f64 v[33:34], v[66:67], v[33:34]
	v_fma_f64 v[104:105], v[240:241], s[24:25], -v[64:65]
	v_add_f64 v[120:121], v[82:83], v[0:1]
	v_add_f64 v[74:75], v[72:73], v[48:49]
	;; [unrolled: 1-line block ×20, first 2 shown]
	s_waitcnt vmcnt(0)
	v_mul_u32_u24_sdwa v16, v19, v16 dst_sel:DWORD dst_unused:UNUSED_PAD src0_sel:WORD_0 src1_sel:DWORD
	buffer_load_dword v19, off, s[48:51], 0 offset:220 ; 4-byte Folded Reload
	s_waitcnt vmcnt(0)
	v_add_lshl_u32 v16, v16, v19, 4
	ds_write_b128 v16, v[72:75]
	ds_write_b128 v16, v[68:71] offset:192
	ds_write_b128 v16, v[64:67] offset:384
	ds_write_b128 v16, v[60:63] offset:576
	ds_write_b128 v16, v[48:51] offset:768
	ds_write_b128 v16, v[4:7] offset:960
	ds_write_b128 v16, v[8:11] offset:1152
	ds_write_b128 v16, v[56:59] offset:1344
	ds_write_b128 v16, v[0:3] offset:1536
	ds_write_b128 v16, v[12:15] offset:1728
	ds_write_b128 v16, v[52:55] offset:1920
	ds_write_b128 v16, v[76:79] offset:2112
	ds_write_b128 v16, v[80:83] offset:2304
.LBB0_9:
	s_or_b32 exec_lo, exec_lo, s33
	s_waitcnt lgkmcnt(0)
	s_barrier
	buffer_gl0_inv
	ds_read_b128 v[0:3], v255 offset:7488
	ds_read_b128 v[4:7], v255 offset:14976
	;; [unrolled: 1-line block ×8, first 2 shown]
	s_mov_b32 s0, 0xe8584caa
	s_mov_b32 s1, 0xbfebb67a
	s_mov_b32 s5, 0x3febb67a
	s_mov_b32 s4, s0
	s_mul_hi_u32 s7, s8, 0x2be0
	s_mul_i32 s6, s8, 0xffffdb70
	s_waitcnt lgkmcnt(7)
	v_mul_f64 v[19:20], v[146:147], v[2:3]
	v_mul_f64 v[21:22], v[146:147], v[0:1]
	s_waitcnt lgkmcnt(6)
	v_mul_f64 v[23:24], v[150:151], v[6:7]
	v_mul_f64 v[25:26], v[150:151], v[4:5]
	;; [unrolled: 3-line block ×6, first 2 shown]
	s_waitcnt lgkmcnt(1)
	v_mul_f64 v[43:44], v[202:203], v[58:59]
	s_waitcnt lgkmcnt(0)
	v_mul_f64 v[45:46], v[206:207], v[62:63]
	v_mul_f64 v[64:65], v[202:203], v[56:57]
	;; [unrolled: 1-line block ×3, first 2 shown]
	v_fma_f64 v[19:20], v[144:145], v[0:1], v[19:20]
	v_fma_f64 v[21:22], v[144:145], v[2:3], -v[21:22]
	v_fma_f64 v[23:24], v[148:149], v[4:5], v[23:24]
	v_fma_f64 v[25:26], v[148:149], v[6:7], -v[25:26]
	;; [unrolled: 2-line block ×6, first 2 shown]
	v_fma_f64 v[43:44], v[200:201], v[56:57], v[43:44]
	v_fma_f64 v[45:46], v[204:205], v[60:61], v[45:46]
	v_fma_f64 v[47:48], v[200:201], v[58:59], -v[64:65]
	v_fma_f64 v[49:50], v[204:205], v[62:63], -v[66:67]
	ds_read_b128 v[0:3], v255
	ds_read_b128 v[4:7], v255 offset:1872
	ds_read_b128 v[8:11], v255 offset:3744
	;; [unrolled: 1-line block ×3, first 2 shown]
	s_waitcnt lgkmcnt(0)
	s_barrier
	buffer_gl0_inv
	v_add_f64 v[51:52], v[19:20], v[23:24]
	v_add_f64 v[53:54], v[21:22], v[25:26]
	v_add_f64 v[65:66], v[21:22], -v[25:26]
	v_add_f64 v[55:56], v[27:28], v[31:32]
	v_add_f64 v[57:58], v[29:30], v[33:34]
	;; [unrolled: 1-line block ×8, first 2 shown]
	v_add_f64 v[19:20], v[19:20], -v[23:24]
	v_add_f64 v[81:82], v[14:15], v[47:48]
	v_add_f64 v[71:72], v[4:5], v[27:28]
	;; [unrolled: 1-line block ×3, first 2 shown]
	v_add_f64 v[29:30], v[29:30], -v[33:34]
	v_add_f64 v[27:28], v[27:28], -v[31:32]
	v_add_f64 v[75:76], v[8:9], v[35:36]
	v_fma_f64 v[51:52], v[51:52], -0.5, v[0:1]
	v_fma_f64 v[83:84], v[53:54], -0.5, v[2:3]
	v_add_f64 v[77:78], v[10:11], v[37:38]
	v_add_f64 v[37:38], v[37:38], -v[41:42]
	v_fma_f64 v[85:86], v[55:56], -0.5, v[4:5]
	v_fma_f64 v[87:88], v[57:58], -0.5, v[6:7]
	v_add_f64 v[35:36], v[35:36], -v[39:40]
	v_add_f64 v[79:80], v[12:13], v[43:44]
	v_fma_f64 v[89:90], v[59:60], -0.5, v[8:9]
	v_fma_f64 v[93:94], v[63:64], -0.5, v[10:11]
	v_add_f64 v[91:92], v[47:48], -v[49:50]
	v_add_f64 v[43:44], v[43:44], -v[45:46]
	v_fma_f64 v[95:96], v[67:68], -0.5, v[12:13]
	v_add_f64 v[0:1], v[61:62], v[23:24]
	v_fma_f64 v[23:24], v[69:70], -0.5, v[14:15]
	v_add_f64 v[2:3], v[21:22], v[25:26]
	v_add_f64 v[14:15], v[81:82], v[49:50]
	;; [unrolled: 1-line block ×5, first 2 shown]
	v_fma_f64 v[48:49], v[65:66], s[0:1], v[51:52]
	v_fma_f64 v[52:53], v[65:66], s[4:5], v[51:52]
	;; [unrolled: 1-line block ×8, first 2 shown]
	v_add_f64 v[10:11], v[77:78], v[41:42]
	v_fma_f64 v[64:65], v[37:38], s[0:1], v[89:90]
	v_fma_f64 v[66:67], v[35:36], s[4:5], v[93:94]
	;; [unrolled: 1-line block ×4, first 2 shown]
	v_add_f64 v[12:13], v[79:80], v[45:46]
	v_fma_f64 v[72:73], v[91:92], s[0:1], v[95:96]
	v_fma_f64 v[74:75], v[43:44], s[4:5], v[23:24]
	;; [unrolled: 1-line block ×4, first 2 shown]
	ds_write_b128 v255, v[0:3]
	ds_write_b128 v255, v[48:51] offset:2496
	ds_write_b128 v255, v[52:55] offset:4992
	ds_write_b128 v213, v[4:7]
	ds_write_b128 v213, v[56:59] offset:2496
	ds_write_b128 v213, v[60:63] offset:4992
	;; [unrolled: 3-line block ×3, first 2 shown]
	ds_write_b128 v17, v[12:15] offset:14976
	ds_write_b128 v17, v[72:75] offset:17472
	;; [unrolled: 1-line block ×3, first 2 shown]
	s_waitcnt lgkmcnt(0)
	s_barrier
	buffer_gl0_inv
	ds_read_b128 v[0:3], v255 offset:7488
	ds_read_b128 v[4:7], v255 offset:14976
	;; [unrolled: 1-line block ×8, first 2 shown]
	s_waitcnt lgkmcnt(7)
	v_mul_f64 v[20:21], v[154:155], v[2:3]
	v_mul_f64 v[22:23], v[154:155], v[0:1]
	s_waitcnt lgkmcnt(6)
	v_mul_f64 v[24:25], v[158:159], v[6:7]
	v_mul_f64 v[26:27], v[158:159], v[4:5]
	;; [unrolled: 3-line block ×4, first 2 shown]
	s_waitcnt lgkmcnt(3)
	v_mul_f64 v[38:39], v[186:187], v[16:17]
	s_waitcnt lgkmcnt(2)
	v_mul_f64 v[42:43], v[182:183], v[48:49]
	;; [unrolled: 2-line block ×3, first 2 shown]
	v_mul_f64 v[36:37], v[186:187], v[18:19]
	v_mul_f64 v[62:63], v[198:199], v[56:57]
	v_mul_f64 v[40:41], v[182:183], v[50:51]
	v_mul_f64 v[44:45], v[194:195], v[54:55]
	v_mul_f64 v[60:61], v[194:195], v[52:53]
	v_fma_f64 v[20:21], v[152:153], v[0:1], v[20:21]
	v_fma_f64 v[22:23], v[152:153], v[2:3], -v[22:23]
	v_fma_f64 v[24:25], v[156:157], v[4:5], v[24:25]
	v_fma_f64 v[26:27], v[156:157], v[6:7], -v[26:27]
	;; [unrolled: 2-line block ×4, first 2 shown]
	v_fma_f64 v[18:19], v[184:185], v[18:19], -v[38:39]
	v_fma_f64 v[38:39], v[180:181], v[50:51], -v[42:43]
	ds_read_b128 v[0:3], v255
	v_fma_f64 v[42:43], v[196:197], v[56:57], v[46:47]
	ds_read_b128 v[4:7], v255 offset:1872
	ds_read_b128 v[8:11], v255 offset:3744
	;; [unrolled: 1-line block ×3, first 2 shown]
	s_clause 0x1
	buffer_load_dword v56, off, s[48:51], 0 offset:48
	buffer_load_dword v57, off, s[48:51], 0 offset:52
	v_fma_f64 v[16:17], v[184:185], v[16:17], v[36:37]
	v_fma_f64 v[36:37], v[180:181], v[48:49], v[40:41]
	;; [unrolled: 1-line block ×3, first 2 shown]
	v_fma_f64 v[44:45], v[192:193], v[54:55], -v[60:61]
	v_fma_f64 v[46:47], v[196:197], v[58:59], -v[62:63]
	v_add_f64 v[48:49], v[20:21], v[24:25]
	v_add_f64 v[50:51], v[22:23], v[26:27]
	v_add_f64 v[62:63], v[22:23], -v[26:27]
	v_add_f64 v[52:53], v[28:29], v[32:33]
	v_add_f64 v[54:55], v[30:31], v[34:35]
	s_waitcnt lgkmcnt(3)
	v_add_f64 v[58:59], v[0:1], v[20:21]
	v_add_f64 v[60:61], v[18:19], v[38:39]
	;; [unrolled: 1-line block ×3, first 2 shown]
	s_waitcnt lgkmcnt(2)
	v_add_f64 v[68:69], v[4:5], v[28:29]
	v_add_f64 v[70:71], v[6:7], v[30:31]
	s_waitcnt lgkmcnt(1)
	v_add_f64 v[74:75], v[10:11], v[18:19]
	v_add_f64 v[72:73], v[8:9], v[16:17]
	v_add_f64 v[20:21], v[20:21], -v[24:25]
	v_add_f64 v[64:65], v[40:41], v[42:43]
	s_waitcnt lgkmcnt(0)
	v_add_f64 v[78:79], v[12:13], v[40:41]
	v_add_f64 v[66:67], v[44:45], v[46:47]
	;; [unrolled: 1-line block ×3, first 2 shown]
	v_add_f64 v[30:31], v[30:31], -v[34:35]
	v_add_f64 v[28:29], v[28:29], -v[32:33]
	;; [unrolled: 1-line block ×4, first 2 shown]
	v_fma_f64 v[48:49], v[48:49], -0.5, v[0:1]
	v_fma_f64 v[50:51], v[50:51], -0.5, v[2:3]
	v_add_f64 v[44:45], v[44:45], -v[46:47]
	v_add_f64 v[40:41], v[40:41], -v[42:43]
	v_fma_f64 v[82:83], v[52:53], -0.5, v[4:5]
	v_fma_f64 v[86:87], v[54:55], -0.5, v[6:7]
	v_add_f64 v[0:1], v[58:59], v[24:25]
	v_fma_f64 v[92:93], v[60:61], -0.5, v[10:11]
	v_add_f64 v[2:3], v[22:23], v[26:27]
	v_add_f64 v[4:5], v[68:69], v[32:33]
	;; [unrolled: 1-line block ×4, first 2 shown]
	v_fma_f64 v[94:95], v[64:65], -0.5, v[12:13]
	v_add_f64 v[12:13], v[78:79], v[42:43]
	v_fma_f64 v[24:25], v[66:67], -0.5, v[14:15]
	v_add_f64 v[14:15], v[80:81], v[46:47]
	v_fma_f64 v[18:19], v[20:21], s[4:5], v[50:51]
	v_fma_f64 v[50:51], v[20:21], s[0:1], v[50:51]
	v_mad_u64_u32 v[20:21], null, s8, v212, 0
	v_fma_f64 v[52:53], v[30:31], s[0:1], v[82:83]
	v_fma_f64 v[54:55], v[28:29], s[4:5], v[86:87]
	;; [unrolled: 1-line block ×7, first 2 shown]
	s_waitcnt vmcnt(1)
	v_mov_b32_e32 v96, v56
	s_waitcnt vmcnt(0)
	v_add_f64 v[56:57], v[16:17], v[36:37]
	v_fma_f64 v[16:17], v[62:63], s[0:1], v[48:49]
	v_fma_f64 v[48:49], v[62:63], s[4:5], v[48:49]
	;; [unrolled: 1-line block ×3, first 2 shown]
	v_mad_u64_u32 v[76:77], null, s10, v96, 0
	s_mul_hi_u32 s10, s8, 0xffffdb70
	v_mov_b32_e32 v22, v77
	v_fma_f64 v[90:91], v[56:57], -0.5, v[8:9]
	v_add_f64 v[8:9], v[72:73], v[36:37]
	v_fma_f64 v[56:57], v[30:31], s[4:5], v[82:83]
	v_fma_f64 v[72:73], v[44:45], s[4:5], v[94:95]
	;; [unrolled: 1-line block ×4, first 2 shown]
	ds_write_b128 v255, v[0:3]
	ds_write_b128 v255, v[4:7] offset:1872
	ds_write_b128 v255, v[8:11] offset:3744
	;; [unrolled: 1-line block ×11, first 2 shown]
	v_mad_u64_u32 v[16:17], null, s11, v96, v[22:23]
	v_mad_u64_u32 v[17:18], null, s9, v212, v[21:22]
	s_waitcnt lgkmcnt(0)
	s_barrier
	buffer_gl0_inv
	ds_read_b128 v[0:3], v255
	ds_read_b128 v[4:7], v255 offset:11232
	ds_read_b128 v[8:11], v255 offset:1872
	;; [unrolled: 1-line block ×3, first 2 shown]
	v_mov_b32_e32 v77, v16
	v_mov_b32_e32 v21, v17
	ds_read_b128 v[16:19], v255 offset:3744
	s_clause 0x7
	buffer_load_dword v40, off, s[48:51], 0 offset:16
	buffer_load_dword v41, off, s[48:51], 0 offset:20
	;; [unrolled: 1-line block ×8, first 2 shown]
	v_lshlrev_b64 v[22:23], 4, v[76:77]
	s_mov_b32 s0, 0xc201756d
	s_mov_b32 s1, 0x3f4756ca
	v_lshlrev_b64 v[20:21], 4, v[20:21]
	s_mul_i32 s5, s9, 0x2be0
	s_mul_i32 s4, s8, 0x2be0
	v_add_co_u32 v22, vcc_lo, s2, v22
	v_add_co_ci_u32_e32 v23, vcc_lo, s3, v23, vcc_lo
	s_add_i32 s5, s7, s5
	v_add_co_u32 v20, vcc_lo, v22, v20
	v_add_co_ci_u32_e32 v21, vcc_lo, v23, v21, vcc_lo
	s_mulk_i32 s9, 0xdb70
	v_add_co_u32 v22, vcc_lo, v20, s4
	v_add_co_ci_u32_e32 v23, vcc_lo, s5, v21, vcc_lo
	s_sub_i32 s2, s10, s8
	v_add_co_u32 v72, vcc_lo, v22, s6
	s_add_i32 s2, s2, s9
	v_add_co_ci_u32_e32 v73, vcc_lo, s2, v23, vcc_lo
	s_waitcnt vmcnt(4) lgkmcnt(4)
	v_mul_f64 v[24:25], v[42:43], v[2:3]
	v_mul_f64 v[26:27], v[42:43], v[0:1]
	s_clause 0x7
	buffer_load_dword v42, off, s[48:51], 0 offset:32
	buffer_load_dword v43, off, s[48:51], 0 offset:36
	buffer_load_dword v44, off, s[48:51], 0 offset:40
	buffer_load_dword v45, off, s[48:51], 0 offset:44
	buffer_load_dword v54, off, s[48:51], 0 offset:184
	buffer_load_dword v55, off, s[48:51], 0 offset:188
	buffer_load_dword v56, off, s[48:51], 0 offset:192
	buffer_load_dword v57, off, s[48:51], 0 offset:196
	s_waitcnt vmcnt(8) lgkmcnt(3)
	v_mul_f64 v[28:29], v[60:61], v[6:7]
	v_mul_f64 v[30:31], v[60:61], v[4:5]
	ds_read_b128 v[46:49], v255 offset:14976
	ds_read_b128 v[50:53], v255 offset:5616
	s_clause 0x3
	buffer_load_dword v82, off, s[48:51], 0 offset:104
	buffer_load_dword v83, off, s[48:51], 0 offset:108
	;; [unrolled: 1-line block ×4, first 2 shown]
	v_fma_f64 v[24:25], v[40:41], v[0:1], v[24:25]
	v_fma_f64 v[26:27], v[40:41], v[2:3], -v[26:27]
	v_fma_f64 v[28:29], v[58:59], v[4:5], v[28:29]
	v_fma_f64 v[30:31], v[58:59], v[6:7], -v[30:31]
	v_mul_f64 v[58:59], v[28:29], s[0:1]
	v_mul_f64 v[60:61], v[30:31], s[0:1]
	s_waitcnt vmcnt(8) lgkmcnt(4)
	v_mul_f64 v[32:33], v[44:45], v[10:11]
	v_mul_f64 v[34:35], v[44:45], v[8:9]
	s_waitcnt vmcnt(4) lgkmcnt(3)
	v_mul_f64 v[36:37], v[56:57], v[14:15]
	v_mul_f64 v[38:39], v[56:57], v[12:13]
	;; [unrolled: 1-line block ×3, first 2 shown]
	s_waitcnt vmcnt(0) lgkmcnt(2)
	v_mul_f64 v[44:45], v[84:85], v[18:19]
	v_mul_f64 v[70:71], v[84:85], v[16:17]
	v_fma_f64 v[32:33], v[42:43], v[8:9], v[32:33]
	v_fma_f64 v[34:35], v[42:43], v[10:11], -v[34:35]
	v_fma_f64 v[36:37], v[54:55], v[12:13], v[36:37]
	v_fma_f64 v[38:39], v[54:55], v[14:15], -v[38:39]
	ds_read_b128 v[0:3], v255 offset:16848
	ds_read_b128 v[4:7], v255 offset:7488
	;; [unrolled: 1-line block ×5, first 2 shown]
	s_clause 0x7
	buffer_load_dword v92, off, s[48:51], 0 offset:120
	buffer_load_dword v93, off, s[48:51], 0 offset:124
	;; [unrolled: 1-line block ×8, first 2 shown]
	v_fma_f64 v[16:17], v[82:83], v[16:17], v[44:45]
	v_fma_f64 v[18:19], v[82:83], v[18:19], -v[70:71]
	s_clause 0x3
	buffer_load_dword v82, off, s[48:51], 0 offset:56
	buffer_load_dword v83, off, s[48:51], 0 offset:60
	;; [unrolled: 1-line block ×4, first 2 shown]
	v_mul_f64 v[54:55], v[24:25], s[0:1]
	v_add_co_u32 v24, vcc_lo, v72, s4
	v_add_co_ci_u32_e32 v25, vcc_lo, s5, v73, vcc_lo
	v_mul_f64 v[62:63], v[32:33], s[0:1]
	v_mul_f64 v[64:65], v[34:35], s[0:1]
	;; [unrolled: 1-line block ×6, first 2 shown]
	s_waitcnt vmcnt(8) lgkmcnt(6)
	v_mul_f64 v[74:75], v[94:95], v[48:49]
	s_waitcnt vmcnt(4) lgkmcnt(5)
	v_mul_f64 v[78:79], v[88:89], v[52:53]
	v_mul_f64 v[80:81], v[88:89], v[50:51]
	s_clause 0x3
	buffer_load_dword v88, off, s[48:51], 0 offset:88
	buffer_load_dword v89, off, s[48:51], 0 offset:92
	;; [unrolled: 1-line block ×4, first 2 shown]
	v_mul_f64 v[76:77], v[94:95], v[46:47]
	s_waitcnt vmcnt(4) lgkmcnt(4)
	v_mul_f64 v[26:27], v[84:85], v[2:3]
	v_mul_f64 v[28:29], v[84:85], v[0:1]
	v_fma_f64 v[34:35], v[92:93], v[46:47], v[74:75]
	v_fma_f64 v[36:37], v[92:93], v[48:49], -v[76:77]
	s_waitcnt vmcnt(0) lgkmcnt(3)
	v_mul_f64 v[30:31], v[90:91], v[6:7]
	v_mul_f64 v[32:33], v[90:91], v[4:5]
	s_clause 0x3
	buffer_load_dword v90, off, s[48:51], 0 offset:136
	buffer_load_dword v91, off, s[48:51], 0 offset:140
	;; [unrolled: 1-line block ×4, first 2 shown]
	s_waitcnt vmcnt(0) lgkmcnt(1)
	v_mul_f64 v[38:39], v[92:93], v[14:15]
	v_mul_f64 v[44:45], v[92:93], v[12:13]
	s_clause 0x3
	buffer_load_dword v92, off, s[48:51], 0 offset:152
	buffer_load_dword v93, off, s[48:51], 0 offset:156
	;; [unrolled: 1-line block ×4, first 2 shown]
	s_waitcnt vmcnt(0)
	v_mul_f64 v[46:47], v[94:95], v[10:11]
	v_mul_f64 v[48:49], v[94:95], v[8:9]
	s_clause 0x3
	buffer_load_dword v94, off, s[48:51], 0 offset:168
	buffer_load_dword v95, off, s[48:51], 0 offset:172
	buffer_load_dword v96, off, s[48:51], 0 offset:176
	buffer_load_dword v97, off, s[48:51], 0 offset:180
	global_store_dwordx4 v[20:21], v[54:57], off
	global_store_dwordx4 v[22:23], v[58:61], off
	;; [unrolled: 1-line block ×4, first 2 shown]
	v_fma_f64 v[20:21], v[86:87], v[50:51], v[78:79]
	v_add_co_u32 v50, vcc_lo, v24, s6
	v_fma_f64 v[22:23], v[86:87], v[52:53], -v[80:81]
	v_add_co_ci_u32_e32 v51, vcc_lo, s2, v25, vcc_lo
	v_fma_f64 v[24:25], v[82:83], v[0:1], v[26:27]
	v_fma_f64 v[26:27], v[82:83], v[2:3], -v[28:29]
	v_fma_f64 v[28:29], v[88:89], v[4:5], v[30:31]
	v_fma_f64 v[30:31], v[88:89], v[6:7], -v[32:33]
	v_mul_f64 v[0:1], v[34:35], s[0:1]
	v_fma_f64 v[32:33], v[90:91], v[12:13], v[38:39]
	v_fma_f64 v[34:35], v[90:91], v[14:15], -v[44:45]
	v_mul_f64 v[2:3], v[36:37], s[0:1]
	v_add_co_u32 v44, vcc_lo, v50, s4
	v_add_co_ci_u32_e32 v45, vcc_lo, s5, v51, vcc_lo
	v_fma_f64 v[36:37], v[92:93], v[8:9], v[46:47]
	v_fma_f64 v[38:39], v[92:93], v[10:11], -v[48:49]
	v_add_co_u32 v46, vcc_lo, v44, s6
	v_add_co_ci_u32_e32 v47, vcc_lo, s2, v45, vcc_lo
	v_mul_f64 v[4:5], v[20:21], s[0:1]
	v_add_co_u32 v48, vcc_lo, v46, s4
	v_mul_f64 v[6:7], v[22:23], s[0:1]
	v_mul_f64 v[8:9], v[24:25], s[0:1]
	;; [unrolled: 1-line block ×3, first 2 shown]
	v_add_co_ci_u32_e32 v49, vcc_lo, s5, v47, vcc_lo
	v_mul_f64 v[12:13], v[28:29], s[0:1]
	v_mul_f64 v[14:15], v[30:31], s[0:1]
	;; [unrolled: 1-line block ×4, first 2 shown]
	v_add_co_u32 v32, vcc_lo, v48, s6
	v_add_co_ci_u32_e32 v33, vcc_lo, s2, v49, vcc_lo
	v_mul_f64 v[24:25], v[36:37], s[0:1]
	v_mul_f64 v[26:27], v[38:39], s[0:1]
	global_store_dwordx4 v[50:51], v[16:19], off
	v_add_co_u32 v16, vcc_lo, v32, s4
	v_add_co_ci_u32_e32 v17, vcc_lo, s5, v33, vcc_lo
	global_store_dwordx4 v[44:45], v[0:3], off
	v_add_co_u32 v0, vcc_lo, v16, s6
	v_add_co_ci_u32_e32 v1, vcc_lo, s2, v17, vcc_lo
	;; [unrolled: 3-line block ×3, first 2 shown]
	s_waitcnt vmcnt(0) lgkmcnt(0)
	v_mul_f64 v[70:71], v[96:97], v[42:43]
	v_mul_f64 v[74:75], v[96:97], v[40:41]
	v_fma_f64 v[40:41], v[94:95], v[40:41], v[70:71]
	v_fma_f64 v[42:43], v[94:95], v[42:43], -v[74:75]
	v_mul_f64 v[28:29], v[40:41], s[0:1]
	v_mul_f64 v[30:31], v[42:43], s[0:1]
	global_store_dwordx4 v[48:49], v[8:11], off
	global_store_dwordx4 v[32:33], v[12:15], off
	;; [unrolled: 1-line block ×5, first 2 shown]
.LBB0_10:
	s_endpgm
	.section	.rodata,"a",@progbits
	.p2align	6, 0x0
	.amdhsa_kernel bluestein_single_fwd_len1404_dim1_dp_op_CI_CI
		.amdhsa_group_segment_fixed_size 22464
		.amdhsa_private_segment_fixed_size 384
		.amdhsa_kernarg_size 104
		.amdhsa_user_sgpr_count 6
		.amdhsa_user_sgpr_private_segment_buffer 1
		.amdhsa_user_sgpr_dispatch_ptr 0
		.amdhsa_user_sgpr_queue_ptr 0
		.amdhsa_user_sgpr_kernarg_segment_ptr 1
		.amdhsa_user_sgpr_dispatch_id 0
		.amdhsa_user_sgpr_flat_scratch_init 0
		.amdhsa_user_sgpr_private_segment_size 0
		.amdhsa_wavefront_size32 1
		.amdhsa_uses_dynamic_stack 0
		.amdhsa_system_sgpr_private_segment_wavefront_offset 1
		.amdhsa_system_sgpr_workgroup_id_x 1
		.amdhsa_system_sgpr_workgroup_id_y 0
		.amdhsa_system_sgpr_workgroup_id_z 0
		.amdhsa_system_sgpr_workgroup_info 0
		.amdhsa_system_vgpr_workitem_id 0
		.amdhsa_next_free_vgpr 256
		.amdhsa_next_free_sgpr 52
		.amdhsa_reserve_vcc 1
		.amdhsa_reserve_flat_scratch 0
		.amdhsa_float_round_mode_32 0
		.amdhsa_float_round_mode_16_64 0
		.amdhsa_float_denorm_mode_32 3
		.amdhsa_float_denorm_mode_16_64 3
		.amdhsa_dx10_clamp 1
		.amdhsa_ieee_mode 1
		.amdhsa_fp16_overflow 0
		.amdhsa_workgroup_processor_mode 1
		.amdhsa_memory_ordered 1
		.amdhsa_forward_progress 0
		.amdhsa_shared_vgpr_count 0
		.amdhsa_exception_fp_ieee_invalid_op 0
		.amdhsa_exception_fp_denorm_src 0
		.amdhsa_exception_fp_ieee_div_zero 0
		.amdhsa_exception_fp_ieee_overflow 0
		.amdhsa_exception_fp_ieee_underflow 0
		.amdhsa_exception_fp_ieee_inexact 0
		.amdhsa_exception_int_div_zero 0
	.end_amdhsa_kernel
	.text
.Lfunc_end0:
	.size	bluestein_single_fwd_len1404_dim1_dp_op_CI_CI, .Lfunc_end0-bluestein_single_fwd_len1404_dim1_dp_op_CI_CI
                                        ; -- End function
	.section	.AMDGPU.csdata,"",@progbits
; Kernel info:
; codeLenInByte = 23252
; NumSgprs: 54
; NumVgprs: 256
; ScratchSize: 384
; MemoryBound: 0
; FloatMode: 240
; IeeeMode: 1
; LDSByteSize: 22464 bytes/workgroup (compile time only)
; SGPRBlocks: 6
; VGPRBlocks: 31
; NumSGPRsForWavesPerEU: 54
; NumVGPRsForWavesPerEU: 256
; Occupancy: 4
; WaveLimiterHint : 1
; COMPUTE_PGM_RSRC2:SCRATCH_EN: 1
; COMPUTE_PGM_RSRC2:USER_SGPR: 6
; COMPUTE_PGM_RSRC2:TRAP_HANDLER: 0
; COMPUTE_PGM_RSRC2:TGID_X_EN: 1
; COMPUTE_PGM_RSRC2:TGID_Y_EN: 0
; COMPUTE_PGM_RSRC2:TGID_Z_EN: 0
; COMPUTE_PGM_RSRC2:TIDIG_COMP_CNT: 0
	.text
	.p2alignl 6, 3214868480
	.fill 48, 4, 3214868480
	.type	__hip_cuid_63ff101dabecb25,@object ; @__hip_cuid_63ff101dabecb25
	.section	.bss,"aw",@nobits
	.globl	__hip_cuid_63ff101dabecb25
__hip_cuid_63ff101dabecb25:
	.byte	0                               ; 0x0
	.size	__hip_cuid_63ff101dabecb25, 1

	.ident	"AMD clang version 19.0.0git (https://github.com/RadeonOpenCompute/llvm-project roc-6.4.0 25133 c7fe45cf4b819c5991fe208aaa96edf142730f1d)"
	.section	".note.GNU-stack","",@progbits
	.addrsig
	.addrsig_sym __hip_cuid_63ff101dabecb25
	.amdgpu_metadata
---
amdhsa.kernels:
  - .args:
      - .actual_access:  read_only
        .address_space:  global
        .offset:         0
        .size:           8
        .value_kind:     global_buffer
      - .actual_access:  read_only
        .address_space:  global
        .offset:         8
        .size:           8
        .value_kind:     global_buffer
      - .actual_access:  read_only
        .address_space:  global
        .offset:         16
        .size:           8
        .value_kind:     global_buffer
      - .actual_access:  read_only
        .address_space:  global
        .offset:         24
        .size:           8
        .value_kind:     global_buffer
      - .actual_access:  read_only
        .address_space:  global
        .offset:         32
        .size:           8
        .value_kind:     global_buffer
      - .offset:         40
        .size:           8
        .value_kind:     by_value
      - .address_space:  global
        .offset:         48
        .size:           8
        .value_kind:     global_buffer
      - .address_space:  global
        .offset:         56
        .size:           8
        .value_kind:     global_buffer
      - .address_space:  global
        .offset:         64
        .size:           8
        .value_kind:     global_buffer
      - .address_space:  global
        .offset:         72
        .size:           8
        .value_kind:     global_buffer
      - .offset:         80
        .size:           4
        .value_kind:     by_value
      - .address_space:  global
        .offset:         88
        .size:           8
        .value_kind:     global_buffer
      - .address_space:  global
        .offset:         96
        .size:           8
        .value_kind:     global_buffer
    .group_segment_fixed_size: 22464
    .kernarg_segment_align: 8
    .kernarg_segment_size: 104
    .language:       OpenCL C
    .language_version:
      - 2
      - 0
    .max_flat_workgroup_size: 117
    .name:           bluestein_single_fwd_len1404_dim1_dp_op_CI_CI
    .private_segment_fixed_size: 384
    .sgpr_count:     54
    .sgpr_spill_count: 0
    .symbol:         bluestein_single_fwd_len1404_dim1_dp_op_CI_CI.kd
    .uniform_work_group_size: 1
    .uses_dynamic_stack: false
    .vgpr_count:     256
    .vgpr_spill_count: 99
    .wavefront_size: 32
    .workgroup_processor_mode: 1
amdhsa.target:   amdgcn-amd-amdhsa--gfx1030
amdhsa.version:
  - 1
  - 2
...

	.end_amdgpu_metadata
